;; amdgpu-corpus repo=ROCm/rocFFT kind=compiled arch=gfx906 opt=O3
	.text
	.amdgcn_target "amdgcn-amd-amdhsa--gfx906"
	.amdhsa_code_object_version 6
	.protected	bluestein_single_fwd_len1078_dim1_half_op_CI_CI ; -- Begin function bluestein_single_fwd_len1078_dim1_half_op_CI_CI
	.globl	bluestein_single_fwd_len1078_dim1_half_op_CI_CI
	.p2align	8
	.type	bluestein_single_fwd_len1078_dim1_half_op_CI_CI,@function
bluestein_single_fwd_len1078_dim1_half_op_CI_CI: ; @bluestein_single_fwd_len1078_dim1_half_op_CI_CI
; %bb.0:
	v_mul_u32_u24_e32 v1, 0x354, v0
	s_load_dwordx4 s[16:19], s[4:5], 0x28
	v_lshrrev_b32_e32 v1, 16, v1
	v_mad_u64_u32 v[32:33], s[0:1], s6, 3, v[1:2]
	v_mov_b32_e32 v33, 0
	s_waitcnt lgkmcnt(0)
	v_cmp_gt_u64_e32 vcc, s[16:17], v[32:33]
	s_and_saveexec_b64 s[0:1], vcc
	s_cbranch_execz .LBB0_10
; %bb.1:
	s_load_dwordx4 s[12:15], s[4:5], 0x18
	s_load_dwordx4 s[0:3], s[4:5], 0x0
	v_mul_lo_u16_e32 v1, 0x4d, v1
	v_sub_u16_e32 v81, v0, v1
	s_movk_i32 s16, 0x4d
	s_waitcnt lgkmcnt(0)
	s_load_dwordx4 s[8:11], s[12:13], 0x0
                                        ; implicit-def: $vgpr56
                                        ; implicit-def: $vgpr64
                                        ; implicit-def: $vgpr63
                                        ; implicit-def: $vgpr54
                                        ; implicit-def: $vgpr62
                                        ; implicit-def: $vgpr87
                                        ; implicit-def: $vgpr47
                                        ; implicit-def: $vgpr46
                                        ; implicit-def: $vgpr45
                                        ; implicit-def: $vgpr29
                                        ; implicit-def: $vgpr39
                                        ; implicit-def: $vgpr38
                                        ; implicit-def: $vgpr42
	s_waitcnt lgkmcnt(0)
	v_mad_u64_u32 v[0:1], s[6:7], s10, v32, 0
	v_mad_u64_u32 v[2:3], s[6:7], s8, v81, 0
	s_mul_hi_u32 s12, s8, 0x86c
	s_mul_i32 s13, s8, 0x86c
	v_mad_u64_u32 v[4:5], s[6:7], s11, v32, v[1:2]
	s_load_dwordx2 s[10:11], s[4:5], 0x38
	v_mad_u64_u32 v[5:6], s[6:7], s9, v81, v[3:4]
	v_mov_b32_e32 v1, v4
	v_lshlrev_b64 v[0:1], 2, v[0:1]
	v_mov_b32_e32 v6, s19
	v_mov_b32_e32 v3, v5
	v_add_co_u32_e32 v4, vcc, s18, v0
	v_addc_co_u32_e32 v5, vcc, v6, v1, vcc
	v_lshlrev_b64 v[0:1], 2, v[2:3]
	s_mul_i32 s6, s9, 0x86c
	v_add_co_u32_e32 v0, vcc, v4, v0
	v_addc_co_u32_e32 v1, vcc, v5, v1, vcc
	v_lshlrev_b32_e32 v3, 2, v81
	s_add_i32 s12, s12, s6
	global_load_dword v2, v[0:1], off
	global_load_dword v82, v3, s[0:1]
	v_mov_b32_e32 v4, s12
	v_add_co_u32_e32 v0, vcc, s13, v0
	v_addc_co_u32_e32 v1, vcc, v1, v4, vcc
	global_load_dword v4, v[0:1], off
	global_load_dword v80, v3, s[0:1] offset:2156
	s_mov_b32 s6, 0xaaaaaaab
	v_mul_hi_u32 v5, v32, s6
	s_load_dwordx4 s[4:7], s[14:15], 0x0
	s_mul_hi_u32 s14, s8, 0xfffff8c8
	s_mulk_i32 s9, 0xf8c8
	s_mul_i32 s15, s8, 0xfffff8c8
	s_sub_i32 s8, s14, s8
	s_add_i32 s8, s8, s9
	v_lshrrev_b32_e32 v5, 1, v5
	v_mov_b32_e32 v8, s8
	v_add_co_u32_e32 v0, vcc, s15, v0
	v_lshl_add_u32 v5, v5, 1, v5
	v_addc_co_u32_e32 v1, vcc, v1, v8, vcc
	global_load_dword v77, v3, s[0:1] offset:2464
	global_load_dword v75, v3, s[0:1] offset:2772
	;; [unrolled: 1-line block ×8, first 2 shown]
	v_sub_u32_e32 v5, v32, v5
	global_load_dword v8, v[0:1], off
	v_mul_u32_u24_e32 v5, 0x436, v5
	v_lshlrev_b32_e32 v83, 2, v5
	v_mov_b32_e32 v5, s12
	v_add_co_u32_e32 v0, vcc, s13, v0
	v_addc_co_u32_e32 v1, vcc, v1, v5, vcc
	global_load_dword v5, v[0:1], off
	v_mov_b32_e32 v9, s8
	v_add_co_u32_e32 v0, vcc, s15, v0
	v_addc_co_u32_e32 v1, vcc, v1, v9, vcc
	global_load_dword v9, v[0:1], off
	;; [unrolled: 4-line block ×5, first 2 shown]
	global_load_dword v74, v3, s[0:1] offset:3080
	v_add_co_u32_e32 v0, vcc, s15, v0
	v_mov_b32_e32 v14, s12
	v_mov_b32_e32 v15, s8
	;; [unrolled: 1-line block ×3, first 2 shown]
	v_add_u32_e32 v78, v3, v83
	v_lshl_add_u32 v43, v81, 3, v83
	s_waitcnt vmcnt(18)
	v_lshrrev_b32_e32 v11, 16, v2
	s_waitcnt vmcnt(17)
	v_mul_f16_sdwa v12, v82, v2 dst_sel:DWORD dst_unused:UNUSED_PAD src0_sel:WORD_1 src1_sel:DWORD
	v_mul_f16_sdwa v13, v82, v11 dst_sel:DWORD dst_unused:UNUSED_PAD src0_sel:WORD_1 src1_sel:DWORD
	v_fma_f16 v11, v82, v11, -v12
	v_fma_f16 v2, v82, v2, v13
	v_pack_b32_f16 v2, v2, v11
	s_waitcnt vmcnt(16)
	v_lshrrev_b32_e32 v12, 16, v4
	s_waitcnt vmcnt(15)
	v_mul_f16_sdwa v13, v80, v12 dst_sel:DWORD dst_unused:UNUSED_PAD src0_sel:WORD_1 src1_sel:DWORD
	v_fma_f16 v11, v80, v4, v13
	v_mov_b32_e32 v13, s8
	v_addc_co_u32_e32 v1, vcc, v1, v13, vcc
	global_load_dword v13, v[0:1], off
	v_add_co_u32_e32 v0, vcc, s13, v0
	v_addc_co_u32_e32 v1, vcc, v1, v14, vcc
	global_load_dword v14, v[0:1], off
	global_load_dword v71, v3, s[0:1] offset:3388
	v_add_co_u32_e32 v0, vcc, s15, v0
	v_addc_co_u32_e32 v1, vcc, v1, v15, vcc
	global_load_dword v15, v[0:1], off
	v_mul_f16_sdwa v4, v80, v4 dst_sel:DWORD dst_unused:UNUSED_PAD src0_sel:WORD_1 src1_sel:DWORD
	v_fma_f16 v4, v80, v12, -v4
	v_mov_b32_e32 v12, s12
	v_add_co_u32_e32 v0, vcc, s13, v0
	v_addc_co_u32_e32 v1, vcc, v1, v12, vcc
	global_load_dword v12, v[0:1], off
	global_load_dword v69, v3, s[0:1] offset:3696
	v_add_co_u32_e32 v0, vcc, s15, v0
	v_addc_co_u32_e32 v1, vcc, v1, v16, vcc
	global_load_dword v16, v[0:1], off
	v_pack_b32_f16 v4, v11, v4
	v_mov_b32_e32 v11, s12
	v_add_co_u32_e32 v0, vcc, s13, v0
	v_addc_co_u32_e32 v1, vcc, v1, v11, vcc
	global_load_dword v11, v[0:1], off
	global_load_dword v67, v3, s[0:1] offset:4004
	s_waitcnt vmcnt(15)
	v_lshrrev_b32_e32 v0, 16, v8
	v_mul_f16_sdwa v1, v79, v0 dst_sel:DWORD dst_unused:UNUSED_PAD src0_sel:WORD_1 src1_sel:DWORD
	v_mul_f16_sdwa v3, v79, v8 dst_sel:DWORD dst_unused:UNUSED_PAD src0_sel:WORD_1 src1_sel:DWORD
	v_fma_f16 v1, v79, v8, v1
	v_fma_f16 v0, v79, v0, -v3
	v_pack_b32_f16 v0, v1, v0
	ds_write_b32 v78, v4 offset:2156
	ds_write2_b32 v78, v2, v0 offset1:77
	s_waitcnt vmcnt(14)
	v_lshrrev_b32_e32 v0, 16, v5
	v_mul_f16_sdwa v1, v77, v0 dst_sel:DWORD dst_unused:UNUSED_PAD src0_sel:WORD_1 src1_sel:DWORD
	v_mul_f16_sdwa v2, v77, v5 dst_sel:DWORD dst_unused:UNUSED_PAD src0_sel:WORD_1 src1_sel:DWORD
	v_fma_f16 v1, v77, v5, v1
	v_fma_f16 v0, v77, v0, -v2
	v_pack_b32_f16 v1, v1, v0
	s_waitcnt vmcnt(13)
	v_lshrrev_b32_e32 v0, 16, v9
	v_mul_f16_sdwa v2, v76, v0 dst_sel:DWORD dst_unused:UNUSED_PAD src0_sel:WORD_1 src1_sel:DWORD
	v_mul_f16_sdwa v3, v76, v9 dst_sel:DWORD dst_unused:UNUSED_PAD src0_sel:WORD_1 src1_sel:DWORD
	v_fma_f16 v2, v76, v9, v2
	v_fma_f16 v0, v76, v0, -v3
	v_pack_b32_f16 v2, v2, v0
	;; [unrolled: 7-line block ×3, first 2 shown]
	v_add_u32_e32 v0, 0x800, v78
	ds_write2_b32 v0, v1, v3 offset0:104 offset1:181
	s_waitcnt vmcnt(11)
	v_lshrrev_b32_e32 v1, 16, v10
	v_mul_f16_sdwa v3, v73, v1 dst_sel:DWORD dst_unused:UNUSED_PAD src0_sel:WORD_1 src1_sel:DWORD
	v_mul_f16_sdwa v4, v73, v10 dst_sel:DWORD dst_unused:UNUSED_PAD src0_sel:WORD_1 src1_sel:DWORD
	v_fma_f16 v3, v73, v10, v3
	v_fma_f16 v1, v73, v1, -v4
	v_pack_b32_f16 v1, v3, v1
	ds_write2_b32 v78, v2, v1 offset0:154 offset1:231
	s_waitcnt vmcnt(10)
	v_lshrrev_b32_e32 v1, 16, v7
	s_waitcnt vmcnt(9)
	v_mul_f16_sdwa v2, v74, v1 dst_sel:DWORD dst_unused:UNUSED_PAD src0_sel:WORD_1 src1_sel:DWORD
	v_mul_f16_sdwa v3, v74, v7 dst_sel:DWORD dst_unused:UNUSED_PAD src0_sel:WORD_1 src1_sel:DWORD
	v_fma_f16 v2, v74, v7, v2
	v_fma_f16 v1, v74, v1, -v3
	v_pack_b32_f16 v2, v2, v1
	v_add_co_u32_e32 v31, vcc, s16, v81
	v_lshl_add_u32 v51, v31, 3, v83
	v_cmp_gt_u16_e32 vcc, 21, v81
	s_waitcnt vmcnt(8)
	v_lshrrev_b32_e32 v1, 16, v13
	v_mul_f16_sdwa v3, v72, v1 dst_sel:DWORD dst_unused:UNUSED_PAD src0_sel:WORD_1 src1_sel:DWORD
	v_mul_f16_sdwa v4, v72, v13 dst_sel:DWORD dst_unused:UNUSED_PAD src0_sel:WORD_1 src1_sel:DWORD
	v_fma_f16 v3, v72, v13, v3
	v_fma_f16 v1, v72, v1, -v4
	v_pack_b32_f16 v3, v3, v1
	s_waitcnt vmcnt(7)
	v_lshrrev_b32_e32 v1, 16, v14
	s_waitcnt vmcnt(6)
	v_mul_f16_sdwa v4, v71, v1 dst_sel:DWORD dst_unused:UNUSED_PAD src0_sel:WORD_1 src1_sel:DWORD
	v_mul_f16_sdwa v5, v71, v14 dst_sel:DWORD dst_unused:UNUSED_PAD src0_sel:WORD_1 src1_sel:DWORD
	v_fma_f16 v4, v71, v14, v4
	v_fma_f16 v1, v71, v1, -v5
	v_pack_b32_f16 v4, v4, v1
	v_add_u32_e32 v1, 0xc00, v78
	ds_write2_b32 v1, v2, v4 offset0:2 offset1:79
	s_waitcnt vmcnt(5)
	v_lshrrev_b32_e32 v2, 16, v15
	v_mul_f16_sdwa v4, v70, v2 dst_sel:DWORD dst_unused:UNUSED_PAD src0_sel:WORD_1 src1_sel:DWORD
	v_mul_f16_sdwa v5, v70, v15 dst_sel:DWORD dst_unused:UNUSED_PAD src0_sel:WORD_1 src1_sel:DWORD
	v_fma_f16 v4, v70, v15, v4
	v_fma_f16 v2, v70, v2, -v5
	v_pack_b32_f16 v4, v4, v2
	v_add_u32_e32 v2, 0x400, v78
	ds_write2_b32 v2, v3, v4 offset0:52 offset1:129
	s_waitcnt vmcnt(4)
	v_lshrrev_b32_e32 v3, 16, v12
	s_waitcnt vmcnt(3)
	v_mul_f16_sdwa v4, v69, v3 dst_sel:DWORD dst_unused:UNUSED_PAD src0_sel:WORD_1 src1_sel:DWORD
	v_mul_f16_sdwa v5, v69, v12 dst_sel:DWORD dst_unused:UNUSED_PAD src0_sel:WORD_1 src1_sel:DWORD
	v_fma_f16 v4, v69, v12, v4
	v_fma_f16 v3, v69, v3, -v5
	v_pack_b32_f16 v3, v4, v3
	s_waitcnt vmcnt(2)
	v_lshrrev_b32_e32 v4, 16, v16
	v_mul_f16_sdwa v5, v68, v4 dst_sel:DWORD dst_unused:UNUSED_PAD src0_sel:WORD_1 src1_sel:DWORD
	v_mul_f16_sdwa v6, v68, v16 dst_sel:DWORD dst_unused:UNUSED_PAD src0_sel:WORD_1 src1_sel:DWORD
	v_fma_f16 v5, v68, v16, v5
	v_fma_f16 v4, v68, v4, -v6
	v_pack_b32_f16 v4, v5, v4
	ds_write_b32 v78, v4 offset:1848
	s_waitcnt vmcnt(1)
	v_lshrrev_b32_e32 v4, 16, v11
	s_waitcnt vmcnt(0)
	v_mul_f16_sdwa v5, v67, v4 dst_sel:DWORD dst_unused:UNUSED_PAD src0_sel:WORD_1 src1_sel:DWORD
	v_mul_f16_sdwa v6, v67, v11 dst_sel:DWORD dst_unused:UNUSED_PAD src0_sel:WORD_1 src1_sel:DWORD
	v_fma_f16 v5, v67, v11, v5
	v_fma_f16 v4, v67, v4, -v6
	v_pack_b32_f16 v4, v5, v4
	ds_write2_b32 v1, v3, v4 offset0:156 offset1:233
	s_waitcnt lgkmcnt(0)
	s_barrier
	ds_read2_b32 v[4:5], v2 offset0:52 offset1:129
	ds_read2_b32 v[6:7], v1 offset0:156 offset1:233
	v_add_u32_e32 v3, 0x600, v78
	ds_read2_b32 v[8:9], v3 offset0:78 offset1:155
	ds_read2_b32 v[10:11], v78 offset1:77
	ds_read2_b32 v[12:13], v0 offset0:104 offset1:181
	ds_read2_b32 v[14:15], v78 offset0:154 offset1:231
	s_waitcnt lgkmcnt(4)
	v_pk_add_f16 v16, v5, v6 neg_lo:[0,1] neg_hi:[0,1]
	s_waitcnt lgkmcnt(3)
	v_pk_add_f16 v26, v8, v7 neg_lo:[0,1] neg_hi:[0,1]
	ds_read2_b32 v[6:7], v1 offset0:2 offset1:79
	s_waitcnt lgkmcnt(1)
	v_pk_add_f16 v18, v14, v13 neg_lo:[0,1] neg_hi:[0,1]
	v_pk_add_f16 v12, v11, v12 neg_lo:[0,1] neg_hi:[0,1]
	v_pk_fma_f16 v17, v14, 2.0, v18 op_sel_hi:[1,0,1] neg_lo:[0,0,1] neg_hi:[0,0,1]
	v_pk_add_f16 v20, v10, v9 neg_lo:[0,1] neg_hi:[0,1]
	s_waitcnt lgkmcnt(0)
	v_pk_add_f16 v14, v15, v6 neg_lo:[0,1] neg_hi:[0,1]
	v_lshlrev_b16_e32 v6, 1, v81
	v_pk_add_f16 v7, v4, v7 neg_lo:[0,1] neg_hi:[0,1]
	v_pk_fma_f16 v11, v11, 2.0, v12 op_sel_hi:[1,0,1] neg_lo:[0,0,1] neg_hi:[0,0,1]
	v_pk_fma_f16 v13, v15, 2.0, v14 op_sel_hi:[1,0,1] neg_lo:[0,0,1] neg_hi:[0,0,1]
	;; [unrolled: 1-line block ×3, first 2 shown]
	v_lshl_add_u32 v53, v6, 2, v83
	v_pk_fma_f16 v6, v4, 2.0, v7 op_sel_hi:[1,0,1] neg_lo:[0,0,1] neg_hi:[0,0,1]
	v_pk_fma_f16 v15, v5, 2.0, v16 op_sel_hi:[1,0,1] neg_lo:[0,0,1] neg_hi:[0,0,1]
	v_add_u32_e32 v4, 0x800, v43
	s_barrier
	ds_write_b64 v53, v[19:20]
	ds_write_b64 v51, v[11:12]
	ds_write2_b64 v43, v[17:18], v[13:14] offset0:154 offset1:231
	ds_write2_b64 v4, v[6:7], v[15:16] offset0:52 offset1:129
	v_pk_fma_f16 v25, v8, 2.0, v26 op_sel_hi:[1,0,1] neg_lo:[0,0,1] neg_hi:[0,0,1]
	v_add_u32_e32 v4, 0x200, v78
	ds_write_b64 v43, v[25:26] offset:3696
	s_waitcnt lgkmcnt(0)
	s_barrier
	ds_read2_b32 v[17:18], v4 offset0:68 offset1:166
	ds_read_b32 v48, v78 offset:3920
	ds_read2_b32 v[27:28], v78 offset1:98
	ds_read2_b32 v[23:24], v2 offset0:136 offset1:234
	ds_read2_b32 v[21:22], v0 offset0:76 offset1:174
	;; [unrolled: 1-line block ×3, first 2 shown]
	v_lshrrev_b32_e32 v44, 16, v25
	s_and_saveexec_b64 s[8:9], vcc
	s_cbranch_execz .LBB0_3
; %bb.2:
	ds_read2_b32 v[4:5], v78 offset0:77 offset1:175
	ds_read2_b32 v[41:42], v2 offset0:17 offset1:115
	;; [unrolled: 1-line block ×5, first 2 shown]
	ds_read_b32 v62, v78 offset:4228
	s_waitcnt lgkmcnt(5)
	v_lshrrev_b32_e32 v44, 16, v5
	s_waitcnt lgkmcnt(4)
	v_lshrrev_b32_e32 v45, 16, v42
	;; [unrolled: 2-line block ×3, first 2 shown]
	v_lshrrev_b32_e32 v47, 16, v38
	s_waitcnt lgkmcnt(2)
	v_lshrrev_b32_e32 v56, 16, v29
	v_lshrrev_b32_e32 v64, 16, v30
	s_waitcnt lgkmcnt(1)
	v_lshrrev_b32_e32 v63, 16, v39
	;; [unrolled: 3-line block ×3, first 2 shown]
	v_mov_b32_e32 v25, v5
	v_mov_b32_e32 v26, v41
	;; [unrolled: 1-line block ×3, first 2 shown]
.LBB0_3:
	s_or_b64 exec, exec, s[8:9]
	v_and_b32_e32 v52, 1, v81
	v_mul_u32_u24_e32 v0, 10, v52
	v_lshlrev_b32_e32 v41, 2, v0
	global_load_dwordx4 v[8:11], v41, s[2:3]
	global_load_dwordx2 v[35:36], v41, s[2:3] offset:32
	v_and_b32_e32 v84, 1, v31
	v_mul_u32_u24_e32 v0, 10, v84
	v_lshlrev_b32_e32 v49, 2, v0
	global_load_dwordx4 v[0:3], v49, s[2:3]
	global_load_dwordx4 v[12:15], v41, s[2:3] offset:16
	global_load_dwordx2 v[33:34], v49, s[2:3] offset:32
	global_load_dwordx4 v[4:7], v49, s[2:3] offset:16
	s_waitcnt lgkmcnt(3)
	v_lshrrev_b32_e32 v50, 16, v28
	v_lshrrev_b32_e32 v55, 16, v48
	;; [unrolled: 1-line block ×3, first 2 shown]
	s_movk_i32 s8, 0x3abb
	s_movk_i32 s9, 0x36a6
	s_mov_b32 s12, 0xb08e
	s_mov_b32 s13, 0xb93d
	;; [unrolled: 1-line block ×3, first 2 shown]
	s_waitcnt vmcnt(0) lgkmcnt(0)
	s_barrier
	v_mul_f16_sdwa v49, v28, v8 dst_sel:DWORD dst_unused:UNUSED_PAD src0_sel:DWORD src1_sel:WORD_1
	v_mul_f16_sdwa v58, v48, v36 dst_sel:DWORD dst_unused:UNUSED_PAD src0_sel:DWORD src1_sel:WORD_1
	;; [unrolled: 1-line block ×4, first 2 shown]
	v_fma_f16 v49, v50, v8, v49
	v_fma_f16 v86, v55, v36, v58
	v_fma_f16 v41, v28, v8, -v41
	v_fma_f16 v104, v48, v36, -v57
	v_sub_f16_e32 v48, v49, v86
	v_mul_f16_sdwa v59, v44, v0 dst_sel:DWORD dst_unused:UNUSED_PAD src0_sel:DWORD src1_sel:WORD_1
	v_mul_f16_sdwa v60, v61, v1 dst_sel:DWORD dst_unused:UNUSED_PAD src0_sel:DWORD src1_sel:WORD_1
	v_add_f16_e32 v50, v41, v104
	v_sub_f16_e32 v55, v41, v104
	v_add_f16_e32 v106, v27, v41
	v_mul_f16_e32 v41, 0xb853, v48
	v_mul_f16_sdwa v65, v25, v0 dst_sel:DWORD dst_unused:UNUSED_PAD src0_sel:DWORD src1_sel:WORD_1
	v_fma_f16 v25, v25, v0, -v59
	v_fma_f16 v28, v26, v1, -v60
	v_add_f16_e32 v57, v49, v86
	v_add_f16_sdwa v105, v27, v49 dst_sel:DWORD dst_unused:UNUSED_PAD src0_sel:WORD_1 src1_sel:DWORD
	v_mul_f16_e32 v49, 0xbb47, v48
	v_mul_f16_e32 v58, 0xbbeb, v48
	v_mul_f16_e32 v59, 0xba0c, v48
	v_mul_f16_e32 v48, 0xb482, v48
	v_mul_f16_e32 v60, 0xb853, v55
	v_mul_f16_e32 v66, 0xbb47, v55
	v_mul_f16_e32 v85, 0xbbeb, v55
	v_mul_f16_e32 v88, 0xba0c, v55
	v_mul_f16_e32 v55, 0xb482, v55
	v_fma_f16 v89, v50, s8, -v41
	v_fma_f16 v41, v50, s8, v41
	v_fma_f16 v90, v50, s9, -v49
	v_fma_f16 v49, v50, s9, v49
	;; [unrolled: 2-line block ×5, first 2 shown]
	v_fma_f16 v50, v57, s8, v60
	v_fma_f16 v58, v57, s8, -v60
	v_fma_f16 v59, v57, s9, v66
	v_fma_f16 v66, v57, s9, -v66
	;; [unrolled: 2-line block ×5, first 2 shown]
	v_add_f16_e32 v57, v27, v41
	v_mul_f16_sdwa v41, v45, v2 dst_sel:DWORD dst_unused:UNUSED_PAD src0_sel:DWORD src1_sel:WORD_1
	v_add_f16_e32 v98, v27, v90
	v_add_f16_e32 v90, v27, v48
	v_fma_f16 v48, v42, v2, -v41
	v_mul_f16_sdwa v41, v42, v2 dst_sel:DWORD dst_unused:UNUSED_PAD src0_sel:DWORD src1_sel:WORD_1
	v_add_f16_e32 v109, v27, v89
	v_add_f16_sdwa v108, v27, v50 dst_sel:DWORD dst_unused:UNUSED_PAD src0_sel:WORD_1 src1_sel:DWORD
	v_add_f16_sdwa v55, v27, v58 dst_sel:DWORD dst_unused:UNUSED_PAD src0_sel:WORD_1 src1_sel:DWORD
	v_add_f16_sdwa v96, v27, v59 dst_sel:DWORD dst_unused:UNUSED_PAD src0_sel:WORD_1 src1_sel:DWORD
	v_add_f16_e32 v60, v27, v49
	v_add_f16_sdwa v58, v27, v66 dst_sel:DWORD dst_unused:UNUSED_PAD src0_sel:WORD_1 src1_sel:DWORD
	v_add_f16_e32 v97, v27, v91
	v_add_f16_sdwa v95, v27, v94 dst_sel:DWORD dst_unused:UNUSED_PAD src0_sel:WORD_1 src1_sel:DWORD
	v_add_f16_e32 v66, v27, v92
	v_add_f16_sdwa v59, v27, v85 dst_sel:DWORD dst_unused:UNUSED_PAD src0_sel:WORD_1 src1_sel:DWORD
	v_add_f16_e32 v94, v27, v93
	v_add_f16_sdwa v92, v27, v101 dst_sel:DWORD dst_unused:UNUSED_PAD src0_sel:WORD_1 src1_sel:DWORD
	v_add_f16_e32 v89, v27, v99
	v_add_f16_sdwa v85, v27, v88 dst_sel:DWORD dst_unused:UNUSED_PAD src0_sel:WORD_1 src1_sel:DWORD
	v_add_f16_e32 v93, v27, v100
	v_add_f16_sdwa v91, v27, v102 dst_sel:DWORD dst_unused:UNUSED_PAD src0_sel:WORD_1 src1_sel:DWORD
	v_add_f16_sdwa v88, v27, v103 dst_sel:DWORD dst_unused:UNUSED_PAD src0_sel:WORD_1 src1_sel:DWORD
	v_mul_f16_sdwa v27, v26, v1 dst_sel:DWORD dst_unused:UNUSED_PAD src0_sel:DWORD src1_sel:WORD_1
	v_fma_f16 v26, v44, v0, v65
	v_fma_f16 v44, v45, v2, v41
	v_mul_f16_sdwa v41, v37, v3 dst_sel:DWORD dst_unused:UNUSED_PAD src0_sel:DWORD src1_sel:WORD_1
	v_fma_f16 v45, v46, v3, v41
	v_mul_f16_sdwa v41, v46, v3 dst_sel:DWORD dst_unused:UNUSED_PAD src0_sel:DWORD src1_sel:WORD_1
	v_fma_f16 v49, v37, v3, -v41
	v_mul_f16_sdwa v37, v47, v4 dst_sel:DWORD dst_unused:UNUSED_PAD src0_sel:DWORD src1_sel:WORD_1
	v_fma_f16 v50, v38, v4, -v37
	v_mul_f16_sdwa v37, v38, v4 dst_sel:DWORD dst_unused:UNUSED_PAD src0_sel:DWORD src1_sel:WORD_1
	v_fma_f16 v46, v47, v4, v37
	v_mul_f16_sdwa v37, v29, v5 dst_sel:DWORD dst_unused:UNUSED_PAD src0_sel:DWORD src1_sel:WORD_1
	v_fma_f16 v47, v56, v5, v37
	v_mul_f16_sdwa v37, v56, v5 dst_sel:DWORD dst_unused:UNUSED_PAD src0_sel:DWORD src1_sel:WORD_1
	v_fma_f16 v56, v29, v5, -v37
	v_mul_f16_sdwa v29, v64, v6 dst_sel:DWORD dst_unused:UNUSED_PAD src0_sel:DWORD src1_sel:WORD_1
	v_fma_f16 v27, v61, v1, v27
	v_fma_f16 v61, v30, v6, -v29
	v_mul_f16_sdwa v29, v30, v6 dst_sel:DWORD dst_unused:UNUSED_PAD src0_sel:DWORD src1_sel:WORD_1
	v_mul_f16_sdwa v30, v39, v7 dst_sel:DWORD dst_unused:UNUSED_PAD src0_sel:DWORD src1_sel:WORD_1
	;; [unrolled: 1-line block ×3, first 2 shown]
	v_fma_f16 v30, v63, v7, v30
	v_fma_f16 v63, v39, v7, -v37
	v_mul_f16_sdwa v37, v54, v33 dst_sel:DWORD dst_unused:UNUSED_PAD src0_sel:DWORD src1_sel:WORD_1
	v_fma_f16 v29, v64, v6, v29
	v_fma_f16 v64, v40, v33, -v37
	v_mul_f16_sdwa v37, v40, v33 dst_sel:DWORD dst_unused:UNUSED_PAD src0_sel:DWORD src1_sel:WORD_1
	v_fma_f16 v54, v54, v33, v37
	v_mul_f16_sdwa v37, v87, v34 dst_sel:DWORD dst_unused:UNUSED_PAD src0_sel:DWORD src1_sel:WORD_1
	v_fma_f16 v65, v62, v34, -v37
	v_mul_f16_sdwa v37, v62, v34 dst_sel:DWORD dst_unused:UNUSED_PAD src0_sel:DWORD src1_sel:WORD_1
	v_fma_f16 v62, v87, v34, v37
	v_sub_f16_e32 v111, v26, v62
	v_add_f16_e32 v99, v25, v65
	v_mul_f16_e32 v87, 0xbb47, v111
	v_sub_f16_e32 v118, v27, v54
	v_fma_f16 v37, v99, s9, v87
	v_add_f16_e32 v101, v28, v64
	v_mul_f16_e32 v100, 0xba0c, v118
	v_add_f16_e32 v37, v16, v37
	v_fma_f16 v38, v101, s13, v100
	v_mul_f16_e32 v114, 0xbbeb, v111
	v_add_f16_e32 v37, v38, v37
	v_fma_f16 v38, v99, s12, v114
	v_mul_f16_e32 v115, 0x3482, v118
	v_sub_f16_e32 v116, v44, v30
	v_add_f16_e32 v38, v16, v38
	v_fma_f16 v39, v101, s14, v115
	v_add_f16_e32 v103, v48, v63
	v_mul_f16_e32 v102, 0x3482, v116
	v_add_f16_e32 v38, v39, v38
	v_fma_f16 v39, v103, s14, v102
	v_mul_f16_e32 v117, 0x3b47, v116
	v_sub_f16_e32 v120, v45, v29
	v_add_f16_e32 v37, v39, v37
	v_fma_f16 v39, v103, s9, v117
	v_add_f16_e32 v110, v49, v61
	;; [unrolled: 8-line block ×3, first 2 shown]
	v_mul_f16_e32 v112, 0x3853, v122
	v_add_f16_e32 v38, v39, v38
	v_fma_f16 v39, v113, s8, v112
	v_mul_f16_e32 v119, 0xba0c, v122
	v_add_f16_e32 v40, v39, v37
	v_fma_f16 v37, v113, s13, v119
	v_mul_f16_e32 v41, 0xba0c, v111
	v_add_f16_e32 v39, v37, v38
	v_fma_f16 v37, v99, s13, -v41
	v_mul_f16_e32 v42, 0x3beb, v118
	v_add_f16_e32 v37, v16, v37
	v_fma_f16 v38, v101, s12, -v42
	;; [unrolled: 3-line block ×4, first 2 shown]
	v_add_f16_e32 v38, v125, v38
	v_mul_f16_e32 v125, 0xb853, v116
	v_fma_f16 v126, v103, s8, -v125
	v_add_f16_e32 v37, v126, v37
	v_mul_f16_e32 v126, 0xba0c, v116
	v_fma_f16 v41, v99, s13, v41
	v_fma_f16 v127, v103, s13, -v126
	v_add_f16_e32 v41, v16, v41
	v_fma_f16 v42, v101, s12, v42
	v_add_f16_e32 v38, v127, v38
	v_mul_f16_e32 v127, 0xb482, v120
	v_add_f16_e32 v41, v42, v41
	v_fma_f16 v42, v99, s14, v123
	v_fma_f16 v128, v110, s14, -v127
	v_add_f16_e32 v42, v16, v42
	v_fma_f16 v123, v101, s8, v124
	v_add_f16_e32 v37, v128, v37
	v_mul_f16_e32 v128, 0x3b47, v120
	v_add_f16_e32 v42, v123, v42
	;; [unrolled: 7-line block ×4, first 2 shown]
	v_fma_f16 v42, v113, s9, v129
	v_add_f16_e32 v42, v42, v41
	v_fma_f16 v41, v113, s12, v130
	v_add_f16_e32 v41, v41, v123
	v_lshrrev_b32_e32 v123, 16, v17
	v_mul_f16_sdwa v124, v17, v9 dst_sel:DWORD dst_unused:UNUSED_PAD src0_sel:DWORD src1_sel:WORD_1
	v_fma_f16 v124, v123, v9, v124
	v_mul_f16_sdwa v123, v123, v9 dst_sel:DWORD dst_unused:UNUSED_PAD src0_sel:DWORD src1_sel:WORD_1
	v_fma_f16 v17, v17, v9, -v123
	v_lshrrev_b32_e32 v123, 16, v18
	v_mul_f16_sdwa v125, v123, v10 dst_sel:DWORD dst_unused:UNUSED_PAD src0_sel:DWORD src1_sel:WORD_1
	v_fma_f16 v125, v18, v10, -v125
	v_mul_f16_sdwa v18, v18, v10 dst_sel:DWORD dst_unused:UNUSED_PAD src0_sel:DWORD src1_sel:WORD_1
	v_fma_f16 v18, v123, v10, v18
	v_lshrrev_b32_e32 v123, 16, v23
	v_mul_f16_sdwa v126, v23, v11 dst_sel:DWORD dst_unused:UNUSED_PAD src0_sel:DWORD src1_sel:WORD_1
	v_fma_f16 v126, v123, v11, v126
	v_mul_f16_sdwa v123, v123, v11 dst_sel:DWORD dst_unused:UNUSED_PAD src0_sel:DWORD src1_sel:WORD_1
	v_fma_f16 v23, v23, v11, -v123
	v_lshrrev_b32_e32 v123, 16, v24
	v_mul_f16_sdwa v127, v123, v12 dst_sel:DWORD dst_unused:UNUSED_PAD src0_sel:DWORD src1_sel:WORD_1
	v_fma_f16 v127, v24, v12, -v127
	v_mul_f16_sdwa v24, v24, v12 dst_sel:DWORD dst_unused:UNUSED_PAD src0_sel:DWORD src1_sel:WORD_1
	v_fma_f16 v24, v123, v12, v24
	v_lshrrev_b32_e32 v123, 16, v21
	v_mul_f16_sdwa v128, v21, v13 dst_sel:DWORD dst_unused:UNUSED_PAD src0_sel:DWORD src1_sel:WORD_1
	v_fma_f16 v128, v123, v13, v128
	v_mul_f16_sdwa v123, v123, v13 dst_sel:DWORD dst_unused:UNUSED_PAD src0_sel:DWORD src1_sel:WORD_1
	v_fma_f16 v21, v21, v13, -v123
	v_lshrrev_b32_e32 v123, 16, v22
	v_mul_f16_sdwa v129, v123, v14 dst_sel:DWORD dst_unused:UNUSED_PAD src0_sel:DWORD src1_sel:WORD_1
	v_add_f16_e32 v106, v106, v17
	v_fma_f16 v129, v22, v14, -v129
	v_mul_f16_sdwa v22, v22, v14 dst_sel:DWORD dst_unused:UNUSED_PAD src0_sel:DWORD src1_sel:WORD_1
	v_add_f16_e32 v106, v106, v125
	v_add_f16_e32 v105, v105, v124
	v_fma_f16 v131, v113, s12, -v130
	v_fma_f16 v22, v123, v14, v22
	v_lshrrev_b32_e32 v123, 16, v19
	v_mul_f16_sdwa v130, v19, v15 dst_sel:DWORD dst_unused:UNUSED_PAD src0_sel:DWORD src1_sel:WORD_1
	v_add_f16_e32 v106, v106, v23
	v_add_f16_e32 v105, v105, v18
	v_fma_f16 v130, v123, v15, v130
	v_mul_f16_sdwa v123, v123, v15 dst_sel:DWORD dst_unused:UNUSED_PAD src0_sel:DWORD src1_sel:WORD_1
	v_add_f16_e32 v106, v106, v127
	v_add_f16_e32 v105, v105, v126
	v_fma_f16 v19, v19, v15, -v123
	v_lshrrev_b32_e32 v123, 16, v20
	v_add_f16_e32 v106, v106, v21
	v_add_f16_e32 v105, v105, v24
	;; [unrolled: 1-line block ×3, first 2 shown]
	v_mul_f16_sdwa v131, v123, v35 dst_sel:DWORD dst_unused:UNUSED_PAD src0_sel:DWORD src1_sel:WORD_1
	v_add_f16_e32 v106, v106, v129
	v_add_f16_e32 v105, v105, v128
	v_fma_f16 v131, v20, v35, -v131
	v_mul_f16_sdwa v20, v20, v35 dst_sel:DWORD dst_unused:UNUSED_PAD src0_sel:DWORD src1_sel:WORD_1
	v_add_f16_e32 v106, v106, v19
	v_add_f16_e32 v105, v105, v22
	v_fma_f16 v20, v123, v35, v20
	v_add_f16_e32 v106, v106, v131
	v_add_f16_e32 v105, v105, v130
	;; [unrolled: 1-line block ×5, first 2 shown]
	v_sub_f16_e32 v20, v124, v20
	v_add_f16_e32 v86, v105, v86
	v_add_f16_e32 v105, v17, v131
	v_mul_f16_e32 v123, 0xbb47, v20
	v_sub_f16_e32 v17, v17, v131
	v_fma_f16 v124, v105, s9, -v123
	v_add_f16_e32 v109, v124, v109
	v_mul_f16_e32 v124, 0xbb47, v17
	v_fma_f16 v131, v106, s9, v124
	v_add_f16_e32 v108, v131, v108
	v_add_f16_e32 v131, v125, v19
	v_sub_f16_e32 v19, v125, v19
	v_add_f16_e32 v125, v18, v130
	v_sub_f16_e32 v18, v18, v130
	v_mul_f16_e32 v130, 0xbbeb, v18
	v_fma_f16 v132, v131, s12, -v130
	v_add_f16_e32 v109, v132, v109
	v_mul_f16_e32 v132, 0xbbeb, v19
	v_fma_f16 v133, v125, s12, v132
	v_add_f16_e32 v108, v133, v108
	v_add_f16_e32 v133, v23, v129
	v_sub_f16_e32 v23, v23, v129
	v_add_f16_e32 v129, v126, v22
	v_sub_f16_e32 v22, v126, v22
	v_mul_f16_e32 v126, 0xba0c, v22
	;; [unrolled: 10-line block ×3, first 2 shown]
	v_fma_f16 v136, v135, s14, -v128
	v_add_f16_e32 v109, v136, v109
	v_mul_f16_e32 v136, 0xb482, v21
	v_fma_f16 v137, v127, s14, v136
	v_add_f16_e32 v108, v137, v108
	v_lshrrev_b32_e32 v137, 1, v81
	v_mul_u32_u24_e32 v137, 22, v137
	v_or_b32_e32 v52, v137, v52
	v_pack_b32_f16 v104, v104, v86
	v_pack_b32_f16 v108, v109, v108
	v_lshl_add_u32 v86, v52, 2, v83
	v_mul_f16_e32 v52, 0xba0c, v20
	ds_write2_b32 v86, v104, v108 offset1:2
	v_fma_f16 v104, v105, s13, -v52
	v_add_f16_e32 v98, v104, v98
	v_mul_f16_e32 v104, 0xba0c, v17
	v_fma_f16 v108, v106, s13, v104
	v_add_f16_e32 v96, v108, v96
	v_mul_f16_e32 v108, 0x3482, v20
	v_fma_f16 v109, v105, s14, -v108
	v_add_f16_e32 v97, v109, v97
	v_mul_f16_e32 v109, 0x3482, v17
	v_fma_f16 v137, v106, s14, v109
	v_add_f16_e32 v95, v137, v95
	v_mul_f16_e32 v137, 0x3482, v18
	;; [unrolled: 6-line block ×7, first 2 shown]
	v_fma_f16 v148, v135, s13, -v147
	v_add_f16_e32 v97, v148, v97
	v_mul_f16_e32 v148, 0xba0c, v21
	v_fma_f16 v149, v127, s13, v148
	v_add_f16_e32 v95, v149, v95
	v_pack_b32_f16 v96, v98, v96
	v_pack_b32_f16 v95, v97, v95
	ds_write2_b32 v86, v96, v95 offset0:4 offset1:6
	v_mul_f16_e32 v95, 0x3beb, v20
	v_fma_f16 v96, v105, s12, -v95
	v_add_f16_e32 v94, v96, v94
	v_mul_f16_e32 v96, 0x3beb, v17
	v_fma_f16 v97, v106, s12, v96
	v_mul_f16_e32 v20, 0x3853, v20
	v_add_f16_e32 v92, v97, v92
	v_fma_f16 v97, v105, s8, -v20
	v_mul_f16_e32 v17, 0x3853, v17
	v_add_f16_e32 v93, v97, v93
	v_fma_f16 v97, v106, s8, v17
	v_add_f16_e32 v91, v97, v91
	v_mul_f16_e32 v97, 0xb853, v18
	v_fma_f16 v98, v131, s8, -v97
	v_add_f16_e32 v94, v98, v94
	v_mul_f16_e32 v98, 0xb853, v19
	v_fma_f16 v149, v125, s8, v98
	v_mul_f16_e32 v18, 0xba0c, v18
	v_add_f16_e32 v92, v149, v92
	v_fma_f16 v149, v131, s13, -v18
	v_mul_f16_e32 v19, 0xba0c, v19
	v_add_f16_e32 v93, v149, v93
	v_fma_f16 v149, v125, s13, v19
	v_add_f16_e32 v91, v149, v91
	;; [unrolled: 12-line block ×4, first 2 shown]
	v_pack_b32_f16 v92, v94, v92
	v_pack_b32_f16 v91, v93, v91
	v_fma_f16 v20, v105, s8, v20
	ds_write2_b32 v86, v92, v91 offset0:8 offset1:10
	v_fma_f16 v91, v105, s12, v95
	v_add_f16_e32 v20, v20, v90
	v_fma_f16 v17, v106, s8, -v17
	v_fma_f16 v18, v131, s13, v18
	v_add_f16_e32 v89, v91, v89
	v_fma_f16 v91, v106, s12, -v96
	v_add_f16_e32 v17, v17, v88
	v_fma_f16 v88, v131, s8, v97
	v_add_f16_e32 v18, v18, v20
	v_fma_f16 v19, v125, s13, -v19
	v_fma_f16 v22, v133, s9, v22
	v_add_f16_e32 v85, v91, v85
	v_add_f16_e32 v88, v88, v89
	v_fma_f16 v89, v125, s8, -v98
	v_add_f16_e32 v17, v19, v17
	v_fma_f16 v19, v133, s14, v149
	v_add_f16_e32 v18, v22, v18
	v_fma_f16 v22, v129, s9, -v23
	v_add_f16_e32 v85, v89, v85
	v_add_f16_e32 v19, v19, v88
	v_fma_f16 v20, v129, s14, -v150
	v_add_f16_e32 v17, v22, v17
	v_fma_f16 v22, v135, s9, v151
	v_add_f16_e32 v20, v20, v85
	v_add_f16_e32 v19, v22, v19
	v_fma_f16 v22, v127, s9, -v152
	v_add_f16_e32 v20, v22, v20
	v_fma_f16 v22, v135, s12, v24
	v_fma_f16 v21, v127, s12, -v21
	v_add_f16_e32 v18, v22, v18
	v_add_f16_e32 v17, v21, v17
	v_pack_b32_f16 v17, v18, v17
	v_pack_b32_f16 v18, v19, v20
	ds_write2_b32 v86, v17, v18 offset0:12 offset1:14
	v_fma_f16 v17, v105, s13, v52
	v_add_f16_e32 v17, v17, v60
	v_fma_f16 v18, v106, s13, -v104
	v_fma_f16 v21, v131, s14, v137
	v_add_f16_e32 v18, v18, v58
	v_fma_f16 v19, v105, s14, v108
	v_add_f16_e32 v17, v21, v17
	v_fma_f16 v21, v125, s14, -v138
	v_add_f16_e32 v19, v19, v66
	v_fma_f16 v20, v106, s14, -v109
	v_add_f16_e32 v18, v21, v18
	v_fma_f16 v21, v131, s9, v139
	v_add_f16_e32 v20, v20, v59
	v_add_f16_e32 v19, v21, v19
	v_fma_f16 v21, v125, s9, -v140
	v_add_f16_e32 v20, v21, v20
	v_fma_f16 v21, v133, s12, v141
	v_add_f16_e32 v17, v21, v17
	v_fma_f16 v21, v129, s12, -v142
	v_add_f16_e32 v18, v21, v18
	v_fma_f16 v21, v133, s8, v143
	;; [unrolled: 4-line block ×4, first 2 shown]
	v_add_f16_e32 v19, v21, v19
	v_fma_f16 v21, v127, s13, -v148
	v_add_f16_e32 v20, v21, v20
	v_pack_b32_f16 v19, v19, v20
	v_pack_b32_f16 v17, v17, v18
	ds_write2_b32 v86, v19, v17 offset0:16 offset1:18
	v_fma_f16 v17, v105, s9, v123
	v_add_f16_e32 v17, v17, v57
	v_fma_f16 v18, v106, s9, -v124
	v_fma_f16 v19, v131, s12, v130
	v_add_f16_e32 v18, v18, v55
	v_add_f16_e32 v17, v19, v17
	v_fma_f16 v19, v125, s12, -v132
	v_add_f16_e32 v18, v19, v18
	v_fma_f16 v19, v133, s13, v126
	v_add_f16_e32 v17, v19, v17
	v_fma_f16 v19, v129, s13, -v134
	v_add_f16_e32 v18, v19, v18
	v_fma_f16 v19, v135, s14, v128
	v_add_f16_e32 v52, v19, v17
	v_fma_f16 v17, v127, s14, -v136
	v_add_f16_e32 v55, v17, v18
	v_mul_f16_e32 v17, 0xb853, v111
	v_fma_f16 v18, v99, s8, v17
	v_add_f16_e32 v19, v16, v18
	v_mul_f16_e32 v18, 0xbb47, v118
	v_fma_f16 v20, v101, s9, v18
	v_sub_f16_e32 v23, v25, v65
	v_add_f16_e32 v57, v20, v19
	v_add_f16_e32 v24, v26, v62
	v_mul_f16_e32 v19, 0xb853, v23
	v_fma_f16 v20, v24, s8, -v19
	v_sub_f16_e32 v58, v28, v64
	v_add_f16_sdwa v21, v16, v20 dst_sel:DWORD dst_unused:UNUSED_PAD src0_sel:WORD_1 src1_sel:DWORD
	v_add_f16_e32 v66, v27, v54
	v_mul_f16_e32 v20, 0xbb47, v58
	v_fma_f16 v22, v66, s9, -v20
	v_add_f16_e32 v59, v22, v21
	v_mul_f16_e32 v21, 0xbb47, v23
	v_fma_f16 v22, v24, s9, -v21
	v_add_f16_sdwa v60, v16, v22 dst_sel:DWORD dst_unused:UNUSED_PAD src0_sel:WORD_1 src1_sel:DWORD
	v_mul_f16_e32 v22, 0xba0c, v58
	v_fma_f16 v85, v66, s13, -v22
	v_add_f16_e32 v60, v85, v60
	v_fma_f16 v85, v99, s12, -v114
	v_add_f16_e32 v85, v16, v85
	;; [unrolled: 2-line block ×3, first 2 shown]
	v_mul_f16_e32 v88, 0xbbeb, v23
	v_fma_f16 v89, v24, s12, v88
	v_mul_f16_e32 v90, 0x3482, v58
	v_fma_f16 v88, v24, s12, -v88
	v_fma_f16 v91, v66, s14, v90
	v_add_f16_sdwa v88, v16, v88 dst_sel:DWORD dst_unused:UNUSED_PAD src0_sel:WORD_1 src1_sel:DWORD
	v_fma_f16 v90, v66, s14, -v90
	v_add_f16_sdwa v89, v16, v89 dst_sel:DWORD dst_unused:UNUSED_PAD src0_sel:WORD_1 src1_sel:DWORD
	v_add_f16_e32 v90, v90, v88
	v_mul_f16_e32 v88, 0xba0c, v23
	v_add_f16_e32 v89, v91, v89
	v_fma_f16 v91, v24, s13, v88
	v_mul_f16_e32 v92, 0x3beb, v58
	v_fma_f16 v88, v24, s13, -v88
	v_fma_f16 v93, v66, s12, v92
	v_add_f16_sdwa v88, v16, v88 dst_sel:DWORD dst_unused:UNUSED_PAD src0_sel:WORD_1 src1_sel:DWORD
	v_fma_f16 v92, v66, s12, -v92
	v_mul_f16_e32 v23, 0xb482, v23
	v_add_f16_sdwa v91, v16, v91 dst_sel:DWORD dst_unused:UNUSED_PAD src0_sel:WORD_1 src1_sel:DWORD
	v_add_f16_e32 v92, v92, v88
	v_fma_f16 v88, v24, s14, v23
	v_mul_f16_e32 v58, 0x3853, v58
	v_fma_f16 v23, v24, s14, -v23
	v_add_f16_e32 v91, v93, v91
	v_fma_f16 v93, v66, s8, v58
	v_add_f16_sdwa v23, v16, v23 dst_sel:DWORD dst_unused:UNUSED_PAD src0_sel:WORD_1 src1_sel:DWORD
	v_fma_f16 v58, v66, s8, -v58
	v_add_f16_sdwa v88, v16, v88 dst_sel:DWORD dst_unused:UNUSED_PAD src0_sel:WORD_1 src1_sel:DWORD
	v_add_f16_e32 v58, v58, v23
	v_mul_f16_e32 v23, 0xbbeb, v116
	v_add_f16_e32 v93, v93, v88
	v_fma_f16 v88, v103, s12, v23
	v_sub_f16_e32 v94, v48, v63
	v_add_f16_e32 v57, v88, v57
	v_add_f16_e32 v106, v44, v30
	v_mul_f16_e32 v88, 0xbbeb, v94
	v_fma_f16 v95, v106, s12, -v88
	v_mul_f16_e32 v104, 0x3482, v94
	v_add_f16_e32 v59, v95, v59
	v_fma_f16 v95, v106, s14, -v104
	v_add_f16_e32 v60, v95, v60
	v_fma_f16 v95, v103, s9, -v117
	v_add_f16_e32 v85, v95, v85
	v_mul_f16_e32 v95, 0x3b47, v94
	v_fma_f16 v96, v106, s9, v95
	v_add_f16_e32 v96, v96, v89
	v_fma_f16 v89, v106, s9, -v95
	v_add_f16_e32 v90, v89, v90
	v_mul_f16_e32 v89, 0xb853, v94
	v_fma_f16 v95, v106, s8, v89
	v_fma_f16 v89, v106, s8, -v89
	v_add_f16_e32 v92, v89, v92
	v_mul_f16_e32 v89, 0xba0c, v94
	v_fma_f16 v94, v106, s13, v89
	v_fma_f16 v89, v106, s13, -v89
	v_add_f16_e32 v58, v89, v58
	v_mul_f16_e32 v89, 0xba0c, v120
	v_add_f16_e32 v93, v94, v93
	v_fma_f16 v94, v110, s13, v89
	v_add_f16_e32 v57, v94, v57
	v_sub_f16_e32 v94, v49, v61
	v_add_f16_e32 v114, v45, v29
	v_mul_f16_e32 v105, 0xba0c, v94
	v_add_f16_e32 v91, v95, v91
	v_fma_f16 v95, v114, s13, -v105
	v_mul_f16_e32 v109, 0x3beb, v94
	v_add_f16_e32 v59, v95, v59
	v_fma_f16 v95, v114, s12, -v109
	v_add_f16_e32 v60, v95, v60
	v_fma_f16 v95, v110, s8, -v121
	v_add_f16_e32 v85, v95, v85
	v_mul_f16_e32 v95, 0xb853, v94
	v_fma_f16 v97, v114, s8, v95
	v_fma_f16 v95, v114, s8, -v95
	v_add_f16_e32 v90, v95, v90
	v_mul_f16_e32 v95, 0xb482, v94
	v_add_f16_e32 v117, v97, v96
	v_fma_f16 v96, v114, s14, v95
	v_fma_f16 v95, v114, s14, -v95
	v_add_f16_e32 v118, v95, v92
	v_mul_f16_e32 v92, 0x3b47, v94
	v_fma_f16 v94, v114, s9, v92
	v_fma_f16 v92, v114, s9, -v92
	v_mul_f16_e32 v108, 0xb482, v122
	v_add_f16_e32 v58, v92, v58
	v_fma_f16 v92, v113, s14, v108
	v_add_f16_e32 v97, v92, v57
	v_sub_f16_e32 v57, v50, v56
	v_add_f16_e32 v116, v46, v47
	v_mul_f16_e32 v111, 0xb482, v57
	v_fma_f16 v92, v116, s14, -v111
	v_mul_f16_e32 v115, 0x3853, v57
	v_add_f16_e32 v98, v92, v59
	v_fma_f16 v59, v116, s8, -v115
	v_add_f16_e32 v91, v96, v91
	v_add_f16_e32 v96, v59, v60
	v_mul_f16_e32 v59, 0xba0c, v57
	v_fma_f16 v60, v116, s13, v59
	v_fma_f16 v59, v116, s13, -v59
	v_add_f16_e32 v95, v59, v90
	v_mul_f16_e32 v59, 0x3b47, v57
	v_add_f16_e32 v92, v60, v117
	v_fma_f16 v60, v116, s9, v59
	v_fma_f16 v59, v116, s9, -v59
	v_mul_f16_e32 v57, 0xbbeb, v57
	v_add_f16_e32 v93, v94, v93
	v_add_f16_e32 v94, v59, v118
	v_fma_f16 v59, v116, s12, v57
	v_fma_f16 v57, v116, s12, -v57
	v_add_f16_e32 v91, v60, v91
	v_add_f16_e32 v90, v59, v93
	;; [unrolled: 1-line block ×3, first 2 shown]
	v_pack_b32_f16 v52, v52, v55
	v_add_u32_e32 v60, 0x4d0, v43
	v_add_u32_e32 v59, 0x738, v43
	;; [unrolled: 1-line block ×5, first 2 shown]
	v_fma_f16 v43, v113, s13, -v119
	ds_write_b32 v86, v52 offset:80
	v_add_f16_e32 v52, v43, v85
	v_lshrrev_b32_e32 v85, 1, v31
	s_and_saveexec_b64 s[8:9], vcc
	s_cbranch_execz .LBB0_5
; %bb.4:
	v_mul_f16_e32 v117, 0x3abb, v24
	v_mul_f16_e32 v24, 0x36a6, v24
	;; [unrolled: 1-line block ×5, first 2 shown]
	v_add_f16_e32 v21, v21, v24
	v_mul_f16_e32 v118, 0x36a6, v101
	v_mul_f16_e32 v121, 0xb08e, v106
	;; [unrolled: 1-line block ×3, first 2 shown]
	v_add_f16_sdwa v21, v16, v21 dst_sel:DWORD dst_unused:UNUSED_PAD src0_sel:WORD_1 src1_sel:DWORD
	v_add_f16_e32 v22, v22, v66
	v_sub_f16_e32 v17, v43, v17
	v_mul_f16_e32 v120, 0xb08e, v103
	v_mul_f16_e32 v123, 0xb93d, v114
	;; [unrolled: 1-line block ×3, first 2 shown]
	v_add_f16_e32 v21, v22, v21
	v_add_f16_e32 v22, v104, v106
	;; [unrolled: 1-line block ×3, first 2 shown]
	v_sub_f16_e32 v18, v118, v18
	v_mul_f16_e32 v122, 0xb93d, v110
	v_mul_f16_e32 v125, 0xbbad, v116
	;; [unrolled: 1-line block ×3, first 2 shown]
	v_add_f16_e32 v21, v22, v21
	v_add_f16_e32 v22, v109, v114
	v_add_f16_e32 v17, v18, v17
	v_sub_f16_e32 v18, v120, v23
	v_mul_f16_e32 v99, 0x36a6, v99
	v_mul_f16_e32 v124, 0xbbad, v113
	v_add_f16_e32 v21, v22, v21
	v_add_f16_e32 v22, v115, v116
	;; [unrolled: 1-line block ×3, first 2 shown]
	v_sub_f16_e32 v18, v122, v89
	v_add_f16_e32 v21, v22, v21
	v_sub_f16_e32 v22, v99, v87
	v_add_f16_e32 v19, v19, v117
	v_add_f16_e32 v17, v18, v17
	v_sub_f16_e32 v18, v124, v108
	v_add_f16_e32 v22, v16, v22
	v_add_f16_sdwa v19, v16, v19 dst_sel:DWORD dst_unused:UNUSED_PAD src0_sel:WORD_1 src1_sel:DWORD
	v_add_f16_e32 v17, v18, v17
	v_add_f16_e32 v18, v16, v25
	v_add_f16_sdwa v16, v16, v26 dst_sel:DWORD dst_unused:UNUSED_PAD src0_sel:WORD_1 src1_sel:DWORD
	v_add_f16_e32 v18, v18, v28
	v_add_f16_e32 v16, v16, v27
	v_add_f16_e32 v18, v18, v48
	v_add_f16_e32 v16, v16, v44
	v_add_f16_e32 v18, v18, v49
	v_add_f16_e32 v16, v16, v45
	v_add_f16_e32 v20, v20, v119
	v_add_f16_e32 v18, v18, v50
	v_add_f16_e32 v16, v16, v46
	v_mul_f16_e32 v101, 0xb93d, v101
	v_add_f16_e32 v19, v20, v19
	v_add_f16_e32 v20, v88, v121
	;; [unrolled: 1-line block ×4, first 2 shown]
	v_mul_f16_e32 v103, 0xbbad, v103
	v_sub_f16_e32 v24, v101, v100
	v_add_f16_e32 v19, v20, v19
	v_add_f16_e32 v20, v105, v123
	;; [unrolled: 1-line block ×4, first 2 shown]
	v_mul_f16_e32 v110, 0xb08e, v110
	v_add_f16_e32 v22, v24, v22
	v_sub_f16_e32 v24, v103, v102
	v_add_f16_e32 v19, v20, v19
	v_add_f16_e32 v20, v111, v125
	v_add_f16_e32 v18, v18, v63
	v_add_f16_e32 v16, v16, v30
	v_mul_f16_e32 v113, 0x3abb, v113
	v_add_f16_e32 v22, v24, v22
	v_sub_f16_e32 v24, v110, v107
	v_add_f16_e32 v19, v20, v19
	v_add_f16_e32 v18, v18, v64
	;; [unrolled: 1-line block ×3, first 2 shown]
	v_mul_u32_u24_e32 v20, 22, v85
	v_add_f16_e32 v22, v24, v22
	v_sub_f16_e32 v24, v113, v112
	v_add_f16_e32 v18, v18, v65
	v_add_f16_e32 v16, v16, v62
	v_or_b32_e32 v20, v20, v84
	v_add_f16_e32 v22, v24, v22
	v_lshl_add_u32 v20, v20, 2, v83
	v_pack_b32_f16 v16, v18, v16
	v_pack_b32_f16 v17, v17, v19
	s_mov_b32 s12, 0x5040100
	ds_write2_b32 v20, v16, v17 offset1:2
	v_pack_b32_f16 v16, v22, v21
	v_perm_b32 v17, v92, v52, s12
	ds_write2_b32 v20, v16, v17 offset0:4 offset1:6
	v_perm_b32 v16, v91, v37, s12
	v_perm_b32 v17, v90, v38, s12
	ds_write2_b32 v20, v16, v17 offset0:8 offset1:10
	v_perm_b32 v16, v93, v41, s12
	;; [unrolled: 3-line block ×4, first 2 shown]
	ds_write_b32 v20, v16 offset:80
.LBB0_5:
	s_or_b64 exec, exec, s[8:9]
	v_lshrrev_b16_e32 v16, 1, v81
	v_and_b32_e32 v16, 0x7f, v16
	v_mul_lo_u16_e32 v16, 0xbb, v16
	v_lshrrev_b16_e32 v54, 11, v16
	v_mul_lo_u16_e32 v16, 22, v54
	v_sub_u16_e32 v16, v81, v16
	v_and_b32_e32 v56, 0xff, v16
	v_lshrrev_b16_e32 v16, 1, v31
	v_and_b32_e32 v16, 0x7f, v16
	v_mul_lo_u16_e32 v16, 0xbb, v16
	v_lshrrev_b16_e32 v63, 11, v16
	v_mul_lo_u16_e32 v16, 22, v63
	v_sub_u16_e32 v16, v31, v16
	v_mad_u64_u32 v[24:25], s[8:9], v56, 24, s[2:3]
	v_and_b32_e32 v64, 0xff, v16
	v_mad_u64_u32 v[26:27], s[8:9], v64, 24, s[2:3]
	s_waitcnt lgkmcnt(0)
	s_barrier
	global_load_dwordx4 v[20:23], v[24:25], off offset:80
	global_load_dwordx2 v[45:46], v[24:25], off offset:96
	global_load_dwordx4 v[16:19], v[26:27], off offset:80
	global_load_dwordx2 v[43:44], v[26:27], off offset:96
	v_add_u32_e32 v102, 0x400, v78
	ds_read2_b32 v[24:25], v78 offset1:77
	ds_read2_b32 v[26:27], v78 offset0:154 offset1:231
	v_add_u32_e32 v101, 0x600, v78
	v_add_u32_e32 v100, 0x800, v78
	;; [unrolled: 1-line block ×3, first 2 shown]
	ds_read2_b32 v[28:29], v102 offset0:52 offset1:129
	ds_read2_b32 v[30:31], v101 offset0:78 offset1:155
	;; [unrolled: 1-line block ×5, first 2 shown]
	s_waitcnt lgkmcnt(5)
	v_lshrrev_b32_e32 v65, 16, v26
	s_waitcnt lgkmcnt(4)
	v_lshrrev_b32_e32 v87, 16, v28
	;; [unrolled: 2-line block ×5, first 2 shown]
	v_lshrrev_b32_e32 v109, 16, v62
	v_lshrrev_b32_e32 v89, 16, v47
	;; [unrolled: 1-line block ×5, first 2 shown]
	s_movk_i32 s9, 0x2b26
	s_movk_i32 s8, 0x3b00
	s_mov_b32 s12, 0xbcab
	s_movk_i32 s13, 0x39e0
	s_mov_b32 s15, 0xb9e0
	;; [unrolled: 2-line block ×3, first 2 shown]
	v_lshrrev_b32_e32 v106, 16, v31
	v_lshrrev_b32_e32 v107, 16, v48
	s_movk_i32 s14, 0x370e
	v_mul_u32_u24_e32 v54, 0x9a, v54
	v_add_u32_e32 v54, v54, v56
	s_waitcnt vmcnt(0)
	s_barrier
	v_mov_b32_e32 v56, s1
	v_mul_f16_sdwa v118, v103, v45 dst_sel:DWORD dst_unused:UNUSED_PAD src0_sel:DWORD src1_sel:WORD_1
	v_mul_f16_sdwa v110, v65, v20 dst_sel:DWORD dst_unused:UNUSED_PAD src0_sel:DWORD src1_sel:WORD_1
	;; [unrolled: 1-line block ×13, first 2 shown]
	v_fma_f16 v26, v26, v20, -v110
	v_fma_f16 v65, v65, v20, v111
	v_fma_f16 v28, v28, v21, -v112
	v_fma_f16 v87, v87, v21, v113
	;; [unrolled: 2-line block ×4, first 2 shown]
	v_fma_f16 v110, v62, v44, -v132
	v_mul_f16_sdwa v62, v62, v44 dst_sel:DWORD dst_unused:UNUSED_PAD src0_sel:DWORD src1_sel:WORD_1
	v_fma_f16 v30, v30, v22, -v114
	v_fma_f16 v88, v88, v22, v115
	v_fma_f16 v47, v47, v23, -v116
	v_fma_f16 v89, v89, v23, v117
	v_fma_f16 v62, v109, v44, v62
	v_add_f16_e32 v109, v26, v61
	v_add_f16_e32 v111, v65, v104
	v_sub_f16_e32 v26, v26, v61
	v_sub_f16_e32 v61, v65, v104
	v_add_f16_e32 v65, v28, v49
	v_add_f16_e32 v104, v87, v103
	v_sub_f16_e32 v28, v28, v49
	v_sub_f16_e32 v49, v87, v103
	;; [unrolled: 4-line block ×4, first 2 shown]
	v_sub_f16_e32 v109, v109, v87
	v_sub_f16_e32 v111, v111, v103
	;; [unrolled: 1-line block ×4, first 2 shown]
	v_add_f16_e32 v114, v30, v28
	v_add_f16_e32 v115, v47, v49
	v_sub_f16_e32 v116, v30, v28
	v_sub_f16_e32 v117, v47, v49
	;; [unrolled: 1-line block ×4, first 2 shown]
	v_add_f16_e32 v87, v87, v88
	v_add_f16_e32 v88, v103, v89
	v_sub_f16_e32 v30, v26, v30
	v_sub_f16_e32 v47, v61, v47
	v_add_f16_e32 v26, v114, v26
	v_add_f16_e32 v61, v115, v61
	;; [unrolled: 1-line block ×3, first 2 shown]
	v_add_f16_sdwa v24, v24, v88 dst_sel:DWORD dst_unused:UNUSED_PAD src0_sel:WORD_1 src1_sel:DWORD
	v_mul_f16_e32 v103, 0x3a52, v109
	v_mul_f16_e32 v109, 0x3a52, v111
	;; [unrolled: 1-line block ×8, first 2 shown]
	v_mul_f16_sdwa v122, v66, v16 dst_sel:DWORD dst_unused:UNUSED_PAD src0_sel:DWORD src1_sel:WORD_1
	v_mul_f16_sdwa v123, v27, v16 dst_sel:DWORD dst_unused:UNUSED_PAD src0_sel:DWORD src1_sel:WORD_1
	;; [unrolled: 1-line block ×4, first 2 shown]
	v_fma_f16 v87, v87, s12, v89
	v_fma_f16 v88, v88, s12, v24
	;; [unrolled: 1-line block ×4, first 2 shown]
	v_fma_f16 v111, v112, s13, -v111
	v_fma_f16 v114, v113, s13, -v114
	;; [unrolled: 1-line block ×4, first 2 shown]
	v_fma_f16 v112, v30, s16, v115
	v_fma_f16 v113, v47, s16, v116
	v_fma_f16 v28, v28, s8, -v115
	v_fma_f16 v30, v30, s17, -v117
	;; [unrolled: 1-line block ×3, first 2 shown]
	v_mul_f16_sdwa v125, v29, v17 dst_sel:DWORD dst_unused:UNUSED_PAD src0_sel:DWORD src1_sel:WORD_1
	v_mul_f16_sdwa v126, v106, v18 dst_sel:DWORD dst_unused:UNUSED_PAD src0_sel:DWORD src1_sel:WORD_1
	;; [unrolled: 1-line block ×6, first 2 shown]
	v_fma_f16 v27, v27, v16, -v122
	v_fma_f16 v66, v66, v16, v123
	v_fma_f16 v29, v29, v17, -v124
	v_fma_f16 v50, v50, v43, -v130
	;; [unrolled: 1-line block ×3, first 2 shown]
	v_add_f16_e32 v65, v65, v87
	v_add_f16_e32 v104, v104, v88
	;; [unrolled: 1-line block ×6, first 2 shown]
	v_fma_f16 v103, v26, s14, v112
	v_fma_f16 v28, v26, s14, v28
	;; [unrolled: 1-line block ×5, first 2 shown]
	v_fma_f16 v31, v31, v18, -v126
	v_fma_f16 v106, v106, v18, v127
	v_fma_f16 v48, v48, v19, -v128
	v_fma_f16 v107, v107, v19, v129
	v_fma_f16 v108, v108, v43, v131
	;; [unrolled: 1-line block ×4, first 2 shown]
	v_sub_f16_e32 v61, v104, v103
	v_add_f16_e32 v112, v30, v87
	v_sub_f16_e32 v113, v88, v26
	v_sub_f16_e32 v30, v87, v30
	v_add_f16_e32 v26, v26, v88
	v_add_f16_e32 v88, v103, v104
	;; [unrolled: 1-line block ×4, first 2 shown]
	v_sub_f16_e32 v62, v66, v62
	v_add_f16_e32 v66, v29, v50
	v_sub_f16_e32 v27, v27, v110
	v_add_f16_e32 v104, v105, v108
	v_sub_f16_e32 v29, v29, v50
	v_sub_f16_e32 v50, v105, v108
	v_add_f16_e32 v105, v31, v48
	v_add_f16_e32 v108, v106, v107
	v_sub_f16_e32 v31, v48, v31
	v_sub_f16_e32 v48, v107, v106
	v_add_f16_e32 v106, v66, v87
	v_add_f16_e32 v47, v109, v65
	v_sub_f16_e32 v115, v111, v49
	v_add_f16_e32 v116, v28, v114
	v_add_f16_e32 v49, v49, v111
	v_sub_f16_e32 v28, v114, v28
	v_sub_f16_e32 v65, v65, v109
	v_add_f16_e32 v107, v104, v103
	v_sub_f16_e32 v109, v66, v87
	v_sub_f16_e32 v110, v104, v103
	;; [unrolled: 1-line block ×6, first 2 shown]
	v_add_f16_e32 v111, v31, v29
	v_add_f16_e32 v114, v48, v50
	v_sub_f16_e32 v117, v31, v29
	v_sub_f16_e32 v118, v48, v50
	;; [unrolled: 1-line block ×4, first 2 shown]
	v_add_f16_e32 v105, v105, v106
	v_sub_f16_e32 v31, v27, v31
	v_sub_f16_e32 v48, v62, v48
	v_add_f16_e32 v106, v108, v107
	v_add_f16_e32 v27, v111, v27
	v_add_f16_e32 v62, v114, v62
	v_add_f16_e32 v107, v25, v105
	v_mul_f16_e32 v87, 0x3a52, v87
	v_mul_f16_e32 v103, 0x3a52, v103
	;; [unrolled: 1-line block ×8, first 2 shown]
	v_fma_f16 v105, v105, s12, v107
	v_fma_f16 v66, v66, s9, v87
	;; [unrolled: 1-line block ×3, first 2 shown]
	v_fma_f16 v108, v109, s13, -v108
	v_fma_f16 v111, v110, s13, -v111
	v_fma_f16 v87, v109, s15, -v87
	v_fma_f16 v103, v110, s15, -v103
	v_fma_f16 v109, v31, s16, v114
	v_fma_f16 v110, v48, s16, v117
	v_fma_f16 v29, v29, s8, -v114
	v_fma_f16 v31, v31, s17, -v118
	;; [unrolled: 1-line block ×3, first 2 shown]
	v_add_f16_e32 v66, v66, v105
	v_add_f16_e32 v108, v108, v105
	;; [unrolled: 1-line block ×3, first 2 shown]
	v_fma_f16 v105, v27, s14, v109
	v_fma_f16 v29, v27, s14, v29
	;; [unrolled: 1-line block ×4, first 2 shown]
	v_add_f16_e32 v109, v31, v87
	v_sub_f16_e32 v31, v87, v31
	v_lshl_add_u32 v87, v54, 2, v83
	v_pack_b32_f16 v24, v89, v24
	v_pack_b32_f16 v47, v47, v61
	ds_write2_b32 v87, v24, v47 offset1:22
	v_pack_b32_f16 v24, v112, v113
	v_pack_b32_f16 v47, v115, v116
	v_add_f16_sdwa v25, v25, v106 dst_sel:DWORD dst_unused:UNUSED_PAD src0_sel:WORD_1 src1_sel:DWORD
	ds_write2_b32 v87, v24, v47 offset0:44 offset1:66
	v_pack_b32_f16 v24, v49, v28
	v_pack_b32_f16 v26, v30, v26
	v_fma_f16 v106, v106, s12, v25
	ds_write2_b32 v87, v24, v26 offset0:88 offset1:110
	v_pack_b32_f16 v24, v65, v88
	v_fma_f16 v50, v50, s8, -v117
	v_add_f16_e32 v104, v104, v106
	v_add_f16_e32 v111, v111, v106
	;; [unrolled: 1-line block ×3, first 2 shown]
	v_fma_f16 v106, v62, s14, v110
	ds_write_b32 v87, v24 offset:528
	v_mul_u32_u24_e32 v24, 0x9a, v63
	v_fma_f16 v50, v62, s14, v50
	v_add_f16_e32 v48, v106, v66
	v_sub_f16_e32 v62, v104, v105
	v_add_u32_e32 v24, v24, v64
	v_sub_f16_e32 v110, v103, v27
	v_sub_f16_e32 v114, v108, v50
	v_add_f16_e32 v117, v29, v111
	v_lshl_add_u32 v88, v24, 2, v83
	v_pack_b32_f16 v24, v107, v25
	v_pack_b32_f16 v25, v48, v62
	v_mad_u64_u32 v[61:62], s[2:3], v81, 24, s[2:3]
	v_add_f16_e32 v50, v50, v108
	v_sub_f16_e32 v29, v111, v29
	v_add_f16_e32 v27, v27, v103
	ds_write2_b32 v88, v24, v25 offset1:22
	v_pack_b32_f16 v24, v109, v110
	v_pack_b32_f16 v25, v114, v117
	v_sub_f16_e32 v66, v66, v106
	v_add_f16_e32 v103, v105, v104
	ds_write2_b32 v88, v24, v25 offset0:44 offset1:66
	v_pack_b32_f16 v24, v50, v29
	v_pack_b32_f16 v25, v31, v27
	ds_write2_b32 v88, v24, v25 offset0:88 offset1:110
	v_pack_b32_f16 v24, v66, v103
	ds_write_b32 v88, v24 offset:528
	s_waitcnt lgkmcnt(0)
	s_barrier
	global_load_dwordx4 v[24:27], v[61:62], off offset:608
	global_load_dwordx2 v[47:48], v[61:62], off offset:624
	global_load_dwordx4 v[28:31], v[61:62], off offset:2456
	global_load_dwordx2 v[49:50], v[61:62], off offset:2472
	ds_read2_b32 v[61:62], v78 offset0:154 offset1:231
	ds_read2_b32 v[63:64], v78 offset1:77
	ds_read2_b32 v[65:66], v102 offset0:52 offset1:129
	ds_read2_b32 v[103:104], v101 offset0:78 offset1:155
	;; [unrolled: 1-line block ×5, first 2 shown]
	s_waitcnt lgkmcnt(4)
	v_lshrrev_b32_e32 v111, 16, v65
	s_waitcnt lgkmcnt(3)
	v_lshrrev_b32_e32 v112, 16, v103
	v_lshrrev_b32_e32 v89, 16, v61
	s_waitcnt lgkmcnt(2)
	v_lshrrev_b32_e32 v113, 16, v105
	s_waitcnt lgkmcnt(1)
	;; [unrolled: 2-line block ×3, first 2 shown]
	v_lshrrev_b32_e32 v115, 16, v109
	v_lshrrev_b32_e32 v116, 16, v62
	;; [unrolled: 1-line block ×7, first 2 shown]
	v_lshlrev_b32_e32 v54, 2, v81
	v_add_co_u32_e64 v54, s[0:1], s0, v54
	v_addc_co_u32_e64 v56, s[0:1], 0, v56, s[0:1]
	s_movk_i32 s0, 0x1000
	s_waitcnt vmcnt(3)
	v_mul_f16_sdwa v122, v89, v24 dst_sel:DWORD dst_unused:UNUSED_PAD src0_sel:DWORD src1_sel:WORD_1
	v_fma_f16 v122, v61, v24, -v122
	v_mul_f16_sdwa v61, v61, v24 dst_sel:DWORD dst_unused:UNUSED_PAD src0_sel:DWORD src1_sel:WORD_1
	v_fma_f16 v61, v89, v24, v61
	v_mul_f16_sdwa v89, v111, v25 dst_sel:DWORD dst_unused:UNUSED_PAD src0_sel:DWORD src1_sel:WORD_1
	v_fma_f16 v89, v65, v25, -v89
	v_mul_f16_sdwa v65, v65, v25 dst_sel:DWORD dst_unused:UNUSED_PAD src0_sel:DWORD src1_sel:WORD_1
	v_fma_f16 v65, v111, v25, v65
	v_mul_f16_sdwa v111, v112, v26 dst_sel:DWORD dst_unused:UNUSED_PAD src0_sel:DWORD src1_sel:WORD_1
	v_fma_f16 v111, v103, v26, -v111
	v_mul_f16_sdwa v103, v103, v26 dst_sel:DWORD dst_unused:UNUSED_PAD src0_sel:DWORD src1_sel:WORD_1
	v_fma_f16 v103, v112, v26, v103
	v_mul_f16_sdwa v112, v113, v27 dst_sel:DWORD dst_unused:UNUSED_PAD src0_sel:DWORD src1_sel:WORD_1
	v_fma_f16 v112, v105, v27, -v112
	v_mul_f16_sdwa v105, v105, v27 dst_sel:DWORD dst_unused:UNUSED_PAD src0_sel:DWORD src1_sel:WORD_1
	v_fma_f16 v105, v113, v27, v105
	s_waitcnt vmcnt(2)
	v_mul_f16_sdwa v113, v114, v47 dst_sel:DWORD dst_unused:UNUSED_PAD src0_sel:DWORD src1_sel:WORD_1
	v_fma_f16 v113, v107, v47, -v113
	v_mul_f16_sdwa v107, v107, v47 dst_sel:DWORD dst_unused:UNUSED_PAD src0_sel:DWORD src1_sel:WORD_1
	v_fma_f16 v107, v114, v47, v107
	v_mul_f16_sdwa v114, v115, v48 dst_sel:DWORD dst_unused:UNUSED_PAD src0_sel:DWORD src1_sel:WORD_1
	v_fma_f16 v114, v109, v48, -v114
	v_mul_f16_sdwa v109, v109, v48 dst_sel:DWORD dst_unused:UNUSED_PAD src0_sel:DWORD src1_sel:WORD_1
	v_fma_f16 v109, v115, v48, v109
	s_waitcnt vmcnt(1)
	v_mul_f16_sdwa v115, v116, v28 dst_sel:DWORD dst_unused:UNUSED_PAD src0_sel:DWORD src1_sel:WORD_1
	v_fma_f16 v115, v62, v28, -v115
	v_mul_f16_sdwa v62, v62, v28 dst_sel:DWORD dst_unused:UNUSED_PAD src0_sel:DWORD src1_sel:WORD_1
	v_fma_f16 v62, v116, v28, v62
	v_mul_f16_sdwa v116, v117, v29 dst_sel:DWORD dst_unused:UNUSED_PAD src0_sel:DWORD src1_sel:WORD_1
	v_fma_f16 v116, v66, v29, -v116
	v_mul_f16_sdwa v66, v66, v29 dst_sel:DWORD dst_unused:UNUSED_PAD src0_sel:DWORD src1_sel:WORD_1
	v_fma_f16 v66, v117, v29, v66
	;; [unrolled: 4-line block ×4, first 2 shown]
	s_waitcnt vmcnt(0)
	v_mul_f16_sdwa v119, v120, v49 dst_sel:DWORD dst_unused:UNUSED_PAD src0_sel:DWORD src1_sel:WORD_1
	v_fma_f16 v119, v108, v49, -v119
	v_mul_f16_sdwa v108, v108, v49 dst_sel:DWORD dst_unused:UNUSED_PAD src0_sel:DWORD src1_sel:WORD_1
	v_fma_f16 v108, v120, v49, v108
	v_mul_f16_sdwa v120, v121, v50 dst_sel:DWORD dst_unused:UNUSED_PAD src0_sel:DWORD src1_sel:WORD_1
	v_fma_f16 v120, v110, v50, -v120
	v_mul_f16_sdwa v110, v110, v50 dst_sel:DWORD dst_unused:UNUSED_PAD src0_sel:DWORD src1_sel:WORD_1
	v_fma_f16 v110, v121, v50, v110
	v_add_f16_e32 v121, v122, v114
	v_add_f16_e32 v123, v61, v109
	v_sub_f16_e32 v114, v122, v114
	v_sub_f16_e32 v61, v61, v109
	v_add_f16_e32 v109, v89, v113
	v_add_f16_e32 v122, v65, v107
	v_sub_f16_e32 v89, v89, v113
	v_sub_f16_e32 v65, v65, v107
	;; [unrolled: 4-line block ×4, first 2 shown]
	v_sub_f16_e32 v121, v121, v107
	v_sub_f16_e32 v123, v123, v113
	;; [unrolled: 1-line block ×4, first 2 shown]
	v_add_f16_e32 v126, v111, v89
	v_add_f16_e32 v127, v103, v65
	v_sub_f16_e32 v128, v111, v89
	v_sub_f16_e32 v129, v103, v65
	;; [unrolled: 1-line block ×4, first 2 shown]
	v_add_f16_e32 v105, v107, v105
	v_add_f16_e32 v107, v113, v112
	v_sub_f16_e32 v111, v114, v111
	v_sub_f16_e32 v103, v61, v103
	v_add_f16_e32 v112, v126, v114
	v_add_f16_e32 v61, v127, v61
	;; [unrolled: 1-line block ×3, first 2 shown]
	v_add_f16_sdwa v63, v63, v107 dst_sel:DWORD dst_unused:UNUSED_PAD src0_sel:WORD_1 src1_sel:DWORD
	v_mul_f16_e32 v114, 0x3a52, v121
	v_mul_f16_e32 v121, 0x3a52, v123
	;; [unrolled: 1-line block ×8, first 2 shown]
	v_fma_f16 v105, v105, s12, v113
	v_fma_f16 v107, v107, s12, v63
	v_fma_f16 v109, v109, s9, v114
	v_fma_f16 v122, v122, s9, v121
	v_fma_f16 v123, v124, s13, -v123
	v_fma_f16 v126, v125, s13, -v126
	;; [unrolled: 1-line block ×4, first 2 shown]
	v_fma_f16 v124, v111, s16, v127
	v_fma_f16 v125, v103, s16, v128
	v_fma_f16 v89, v89, s8, -v127
	v_fma_f16 v65, v65, s8, -v128
	;; [unrolled: 1-line block ×4, first 2 shown]
	v_add_f16_e32 v109, v109, v105
	v_add_f16_e32 v122, v122, v107
	;; [unrolled: 1-line block ×6, first 2 shown]
	v_fma_f16 v114, v112, s14, v124
	v_fma_f16 v121, v61, s14, v125
	v_fma_f16 v89, v112, s14, v89
	v_fma_f16 v65, v61, s14, v65
	v_fma_f16 v111, v112, s14, v111
	v_fma_f16 v61, v61, s14, v103
	v_add_f16_e32 v103, v121, v109
	v_sub_f16_e32 v112, v122, v114
	v_add_f16_e32 v124, v61, v105
	v_sub_f16_e32 v125, v107, v111
	v_sub_f16_e32 v127, v123, v65
	v_add_f16_e32 v128, v89, v126
	v_add_f16_e32 v65, v65, v123
	v_sub_f16_e32 v123, v126, v89
	v_sub_f16_e32 v61, v105, v61
	v_add_f16_e32 v105, v111, v107
	v_sub_f16_e32 v107, v109, v121
	v_add_f16_e32 v109, v114, v122
	v_add_f16_e32 v89, v115, v120
	;; [unrolled: 1-line block ×3, first 2 shown]
	v_sub_f16_e32 v114, v115, v120
	v_sub_f16_e32 v62, v62, v110
	v_add_f16_e32 v110, v116, v119
	v_add_f16_e32 v115, v66, v108
	v_sub_f16_e32 v116, v116, v119
	v_sub_f16_e32 v66, v66, v108
	v_add_f16_e32 v108, v117, v118
	v_add_f16_e32 v119, v104, v106
	;; [unrolled: 4-line block ×3, first 2 shown]
	v_sub_f16_e32 v120, v110, v89
	v_sub_f16_e32 v121, v115, v111
	;; [unrolled: 1-line block ×6, first 2 shown]
	v_add_f16_e32 v122, v117, v116
	v_add_f16_e32 v126, v104, v66
	v_sub_f16_e32 v129, v117, v116
	v_sub_f16_e32 v130, v104, v66
	;; [unrolled: 1-line block ×3, first 2 shown]
	v_add_f16_e32 v106, v108, v106
	v_add_f16_e32 v108, v119, v118
	v_sub_f16_e32 v117, v114, v117
	v_sub_f16_e32 v104, v62, v104
	;; [unrolled: 1-line block ×3, first 2 shown]
	v_add_f16_e32 v114, v122, v114
	v_add_f16_e32 v62, v126, v62
	v_add_f16_e32 v118, v64, v106
	v_add_f16_sdwa v64, v64, v108 dst_sel:DWORD dst_unused:UNUSED_PAD src0_sel:WORD_1 src1_sel:DWORD
	v_mul_f16_e32 v89, 0x3a52, v89
	v_mul_f16_e32 v111, 0x3a52, v111
	;; [unrolled: 1-line block ×7, first 2 shown]
	v_fma_f16 v106, v106, s12, v118
	v_fma_f16 v108, v108, s12, v64
	;; [unrolled: 1-line block ×4, first 2 shown]
	v_fma_f16 v119, v120, s13, -v119
	v_fma_f16 v122, v121, s13, -v122
	;; [unrolled: 1-line block ×4, first 2 shown]
	v_fma_f16 v121, v104, s16, v129
	v_fma_f16 v66, v66, s8, -v129
	v_fma_f16 v104, v104, s17, -v131
	v_fma_f16 v120, v117, s16, v126
	v_add_f16_e32 v110, v110, v106
	v_add_f16_e32 v119, v119, v106
	;; [unrolled: 1-line block ×4, first 2 shown]
	v_fma_f16 v111, v62, s14, v121
	v_fma_f16 v66, v62, s14, v66
	v_fma_f16 v62, v62, s14, v104
	v_add_f16_e32 v115, v115, v108
	v_add_f16_e32 v122, v122, v108
	v_fma_f16 v108, v114, s14, v120
	v_add_f16_e32 v120, v62, v89
	v_sub_f16_e32 v62, v89, v62
	v_pack_b32_f16 v63, v113, v63
	v_pack_b32_f16 v89, v103, v112
	;; [unrolled: 1-line block ×3, first 2 shown]
	v_add_u32_e32 v113, 0x200, v78
	ds_write2_b32 v113, v89, v103 offset0:26 offset1:180
	v_pack_b32_f16 v89, v127, v128
	v_mul_f16_e32 v130, 0x3b00, v116
	ds_write_b32 v78, v89 offset:1848
	v_lshl_add_u32 v89, v81, 2, v83
	v_fma_f16 v116, v116, s8, -v126
	v_fma_f16 v117, v117, s17, -v130
	v_pack_b32_f16 v65, v65, v123
	v_pack_b32_f16 v61, v61, v105
	v_add_u32_e32 v103, 0x900, v89
	v_fma_f16 v116, v114, s14, v116
	v_fma_f16 v114, v114, s14, v117
	ds_write2_b32 v103, v65, v61 offset0:40 offset1:194
	v_pack_b32_f16 v61, v107, v109
	v_add_f16_e32 v104, v111, v110
	v_sub_f16_e32 v117, v115, v108
	v_sub_f16_e32 v121, v106, v114
	ds_write_b32 v89, v61 offset:3696
	v_pack_b32_f16 v61, v118, v64
	v_sub_f16_e32 v126, v119, v66
	v_add_f16_e32 v129, v116, v122
	v_add_f16_e32 v66, v66, v119
	v_sub_f16_e32 v116, v122, v116
	ds_write2_b32 v78, v63, v61 offset1:77
	v_pack_b32_f16 v61, v104, v117
	v_pack_b32_f16 v63, v120, v121
	v_add_u32_e32 v64, 0x300, v78
	v_add_f16_e32 v106, v114, v106
	v_sub_f16_e32 v110, v110, v111
	v_add_f16_e32 v108, v108, v115
	ds_write2_b32 v64, v61, v63 offset0:39 offset1:193
	v_pack_b32_f16 v61, v126, v129
	v_pack_b32_f16 v63, v66, v116
	ds_write2_b32 v100, v61, v63 offset0:27 offset1:181
	v_pack_b32_f16 v61, v62, v106
	v_pack_b32_f16 v62, v110, v108
	ds_write2_b32 v99, v61, v62 offset0:79 offset1:233
	v_add_co_u32_e64 v61, s[0:1], s0, v54
	v_addc_co_u32_e64 v62, s[0:1], 0, v56, s[0:1]
	s_waitcnt lgkmcnt(0)
	s_barrier
	global_load_dword v103, v[61:62], off offset:216
	s_movk_i32 s0, 0x10d8
	v_add_co_u32_e64 v61, s[0:1], s0, v54
	v_addc_co_u32_e64 v62, s[0:1], 0, v56, s[0:1]
	global_load_dword v54, v[61:62], off offset:2156
	global_load_dword v56, v[61:62], off offset:308
	;; [unrolled: 1-line block ×10, first 2 shown]
	ds_read2_b32 v[63:64], v78 offset1:77
	global_load_dword v114, v[61:62], off offset:3696
	global_load_dword v115, v[61:62], off offset:4004
	;; [unrolled: 1-line block ×3, first 2 shown]
	s_waitcnt lgkmcnt(0)
	v_lshrrev_b32_e32 v112, 16, v63
	s_waitcnt vmcnt(13)
	v_mul_f16_sdwa v65, v112, v103 dst_sel:DWORD dst_unused:UNUSED_PAD src0_sel:DWORD src1_sel:WORD_1
	v_fma_f16 v116, v63, v103, -v65
	ds_read2_b32 v[65:66], v101 offset0:78 offset1:155
	v_mul_f16_sdwa v63, v63, v103 dst_sel:DWORD dst_unused:UNUSED_PAD src0_sel:DWORD src1_sel:WORD_1
	v_fma_f16 v61, v112, v103, v63
	v_pack_b32_f16 v63, v116, v61
	s_waitcnt lgkmcnt(0)
	v_lshrrev_b32_e32 v61, 16, v66
	s_waitcnt vmcnt(12)
	v_mul_f16_sdwa v62, v61, v54 dst_sel:DWORD dst_unused:UNUSED_PAD src0_sel:DWORD src1_sel:WORD_1
	v_fma_f16 v62, v66, v54, -v62
	v_mul_f16_sdwa v66, v66, v54 dst_sel:DWORD dst_unused:UNUSED_PAD src0_sel:DWORD src1_sel:WORD_1
	v_fma_f16 v54, v61, v54, v66
	v_lshrrev_b32_e32 v66, 16, v64
	s_waitcnt vmcnt(11)
	v_mul_f16_sdwa v61, v66, v56 dst_sel:DWORD dst_unused:UNUSED_PAD src0_sel:DWORD src1_sel:WORD_1
	v_pack_b32_f16 v54, v62, v54
	v_fma_f16 v103, v64, v56, -v61
	ds_read2_b32 v[61:62], v100 offset0:104 offset1:181
	v_mul_f16_sdwa v64, v64, v56 dst_sel:DWORD dst_unused:UNUSED_PAD src0_sel:DWORD src1_sel:WORD_1
	v_fma_f16 v56, v66, v56, v64
	v_pack_b32_f16 v56, v103, v56
	ds_write2_b32 v78, v63, v56 offset1:77
	ds_read2_b32 v[63:64], v78 offset0:154 offset1:231
	s_waitcnt lgkmcnt(2)
	v_lshrrev_b32_e32 v56, 16, v61
	s_waitcnt vmcnt(10)
	v_mul_f16_sdwa v66, v56, v104 dst_sel:DWORD dst_unused:UNUSED_PAD src0_sel:DWORD src1_sel:WORD_1
	v_fma_f16 v66, v61, v104, -v66
	v_mul_f16_sdwa v61, v61, v104 dst_sel:DWORD dst_unused:UNUSED_PAD src0_sel:DWORD src1_sel:WORD_1
	v_fma_f16 v56, v56, v104, v61
	s_waitcnt lgkmcnt(0)
	v_lshrrev_b32_e32 v61, 16, v63
	v_pack_b32_f16 v56, v66, v56
	s_waitcnt vmcnt(9)
	v_mul_f16_sdwa v66, v61, v105 dst_sel:DWORD dst_unused:UNUSED_PAD src0_sel:DWORD src1_sel:WORD_1
	v_fma_f16 v66, v63, v105, -v66
	v_mul_f16_sdwa v63, v63, v105 dst_sel:DWORD dst_unused:UNUSED_PAD src0_sel:DWORD src1_sel:WORD_1
	v_fma_f16 v61, v61, v105, v63
	v_pack_b32_f16 v63, v66, v61
	v_lshrrev_b32_e32 v61, 16, v62
	s_waitcnt vmcnt(8)
	v_mul_f16_sdwa v66, v61, v106 dst_sel:DWORD dst_unused:UNUSED_PAD src0_sel:DWORD src1_sel:WORD_1
	v_fma_f16 v66, v62, v106, -v66
	v_mul_f16_sdwa v62, v62, v106 dst_sel:DWORD dst_unused:UNUSED_PAD src0_sel:DWORD src1_sel:WORD_1
	v_fma_f16 v61, v61, v106, v62
	v_pack_b32_f16 v61, v66, v61
	ds_write2_b32 v100, v56, v61 offset0:104 offset1:181
	v_lshrrev_b32_e32 v56, 16, v64
	s_waitcnt vmcnt(7)
	v_mul_f16_sdwa v61, v56, v107 dst_sel:DWORD dst_unused:UNUSED_PAD src0_sel:DWORD src1_sel:WORD_1
	v_fma_f16 v66, v64, v107, -v61
	ds_read2_b32 v[61:62], v99 offset0:2 offset1:79
	v_mul_f16_sdwa v64, v64, v107 dst_sel:DWORD dst_unused:UNUSED_PAD src0_sel:DWORD src1_sel:WORD_1
	v_fma_f16 v56, v56, v107, v64
	v_pack_b32_f16 v56, v66, v56
	ds_write2_b32 v78, v63, v56 offset0:154 offset1:231
	ds_read2_b32 v[63:64], v102 offset0:52 offset1:129
	s_waitcnt lgkmcnt(2)
	v_lshrrev_b32_e32 v56, 16, v61
	s_waitcnt vmcnt(6)
	v_mul_f16_sdwa v66, v56, v108 dst_sel:DWORD dst_unused:UNUSED_PAD src0_sel:DWORD src1_sel:WORD_1
	v_fma_f16 v66, v61, v108, -v66
	v_mul_f16_sdwa v61, v61, v108 dst_sel:DWORD dst_unused:UNUSED_PAD src0_sel:DWORD src1_sel:WORD_1
	v_fma_f16 v56, v56, v108, v61
	s_waitcnt lgkmcnt(0)
	v_lshrrev_b32_e32 v61, 16, v63
	v_pack_b32_f16 v56, v66, v56
	s_waitcnt vmcnt(5)
	v_mul_f16_sdwa v66, v61, v109 dst_sel:DWORD dst_unused:UNUSED_PAD src0_sel:DWORD src1_sel:WORD_1
	v_fma_f16 v66, v63, v109, -v66
	v_mul_f16_sdwa v63, v63, v109 dst_sel:DWORD dst_unused:UNUSED_PAD src0_sel:DWORD src1_sel:WORD_1
	v_fma_f16 v61, v61, v109, v63
	v_pack_b32_f16 v63, v66, v61
	v_lshrrev_b32_e32 v61, 16, v62
	s_waitcnt vmcnt(4)
	v_mul_f16_sdwa v66, v61, v110 dst_sel:DWORD dst_unused:UNUSED_PAD src0_sel:DWORD src1_sel:WORD_1
	v_fma_f16 v66, v62, v110, -v66
	v_mul_f16_sdwa v62, v62, v110 dst_sel:DWORD dst_unused:UNUSED_PAD src0_sel:DWORD src1_sel:WORD_1
	v_fma_f16 v61, v61, v110, v62
	v_pack_b32_f16 v61, v66, v61
	ds_write2_b32 v99, v56, v61 offset0:2 offset1:79
	v_lshrrev_b32_e32 v56, 16, v64
	s_waitcnt vmcnt(3)
	v_mul_f16_sdwa v61, v56, v111 dst_sel:DWORD dst_unused:UNUSED_PAD src0_sel:DWORD src1_sel:WORD_1
	v_fma_f16 v66, v64, v111, -v61
	ds_read2_b32 v[61:62], v99 offset0:156 offset1:233
	v_mul_f16_sdwa v64, v64, v111 dst_sel:DWORD dst_unused:UNUSED_PAD src0_sel:DWORD src1_sel:WORD_1
	v_fma_f16 v56, v56, v111, v64
	v_pack_b32_f16 v56, v66, v56
	ds_write2_b32 v102, v63, v56 offset0:52 offset1:129
	s_waitcnt lgkmcnt(1)
	v_lshrrev_b32_e32 v56, 16, v61
	s_waitcnt vmcnt(2)
	v_mul_f16_sdwa v63, v56, v114 dst_sel:DWORD dst_unused:UNUSED_PAD src0_sel:DWORD src1_sel:WORD_1
	v_fma_f16 v63, v61, v114, -v63
	v_mul_f16_sdwa v61, v61, v114 dst_sel:DWORD dst_unused:UNUSED_PAD src0_sel:DWORD src1_sel:WORD_1
	v_fma_f16 v56, v56, v114, v61
	v_lshrrev_b32_e32 v61, 16, v65
	v_pack_b32_f16 v56, v63, v56
	s_waitcnt vmcnt(0)
	v_mul_f16_sdwa v63, v61, v117 dst_sel:DWORD dst_unused:UNUSED_PAD src0_sel:DWORD src1_sel:WORD_1
	v_mul_f16_sdwa v64, v65, v117 dst_sel:DWORD dst_unused:UNUSED_PAD src0_sel:DWORD src1_sel:WORD_1
	v_fma_f16 v63, v65, v117, -v63
	v_fma_f16 v61, v61, v117, v64
	v_pack_b32_f16 v61, v63, v61
	ds_write2_b32 v101, v61, v54 offset0:78 offset1:155
	v_lshrrev_b32_e32 v54, 16, v62
	v_mul_f16_sdwa v61, v54, v115 dst_sel:DWORD dst_unused:UNUSED_PAD src0_sel:DWORD src1_sel:WORD_1
	v_fma_f16 v61, v62, v115, -v61
	v_mul_f16_sdwa v62, v62, v115 dst_sel:DWORD dst_unused:UNUSED_PAD src0_sel:DWORD src1_sel:WORD_1
	v_fma_f16 v54, v54, v115, v62
	v_pack_b32_f16 v54, v61, v54
	ds_write2_b32 v99, v56, v54 offset0:156 offset1:233
	s_waitcnt lgkmcnt(0)
	s_barrier
	ds_read2_b32 v[61:62], v102 offset0:52 offset1:129
	ds_read2_b32 v[63:64], v99 offset0:156 offset1:233
	;; [unrolled: 1-line block ×3, first 2 shown]
	ds_read2_b32 v[103:104], v78 offset1:77
	ds_read2_b32 v[105:106], v100 offset0:104 offset1:181
	ds_read2_b32 v[107:108], v78 offset0:154 offset1:231
	s_waitcnt lgkmcnt(4)
	v_pk_add_f16 v54, v62, v63 neg_lo:[0,1] neg_hi:[0,1]
	s_waitcnt lgkmcnt(3)
	v_pk_add_f16 v56, v65, v64 neg_lo:[0,1] neg_hi:[0,1]
	ds_read2_b32 v[63:64], v99 offset0:2 offset1:79
	s_waitcnt lgkmcnt(3)
	v_pk_add_f16 v112, v103, v66 neg_lo:[0,1] neg_hi:[0,1]
	s_waitcnt lgkmcnt(1)
	v_pk_add_f16 v110, v107, v106 neg_lo:[0,1] neg_hi:[0,1]
	v_pk_add_f16 v105, v104, v105 neg_lo:[0,1] neg_hi:[0,1]
	v_pk_fma_f16 v109, v107, 2.0, v110 op_sel_hi:[1,0,1] neg_lo:[0,0,1] neg_hi:[0,0,1]
	s_waitcnt lgkmcnt(0)
	v_pk_add_f16 v107, v108, v63 neg_lo:[0,1] neg_hi:[0,1]
	v_pk_add_f16 v64, v61, v64 neg_lo:[0,1] neg_hi:[0,1]
	v_pk_fma_f16 v111, v103, 2.0, v112 op_sel_hi:[1,0,1] neg_lo:[0,0,1] neg_hi:[0,0,1]
	v_pk_fma_f16 v104, v104, 2.0, v105 op_sel_hi:[1,0,1] neg_lo:[0,0,1] neg_hi:[0,0,1]
	;; [unrolled: 1-line block ×4, first 2 shown]
	s_barrier
	ds_write_b64 v53, v[111:112]
	ds_write_b64 v51, v[104:105]
	;; [unrolled: 1-line block ×5, first 2 shown]
	v_pk_fma_f16 v53, v62, 2.0, v54 op_sel_hi:[1,0,1] neg_lo:[0,0,1] neg_hi:[0,0,1]
	ds_write_b64 v55, v[53:54]
	v_pk_fma_f16 v55, v65, 2.0, v56 op_sel_hi:[1,0,1] neg_lo:[0,0,1] neg_hi:[0,0,1]
	ds_write_b64 v57, v[55:56]
	s_waitcnt lgkmcnt(0)
	s_barrier
	ds_read2_b32 v[57:58], v78 offset1:98
	ds_read2_b32 v[65:66], v113 offset0:68 offset1:166
	ds_read2_b32 v[63:64], v102 offset0:136 offset1:234
	;; [unrolled: 1-line block ×4, first 2 shown]
	ds_read_b32 v103, v78 offset:3920
	v_lshrrev_b32_e32 v53, 16, v55
	s_and_saveexec_b64 s[0:1], vcc
	s_cbranch_execz .LBB0_7
; %bb.6:
	ds_read2_b32 v[54:55], v78 offset0:77 offset1:175
	ds_read2_b32 v[51:52], v102 offset0:17 offset1:115
	;; [unrolled: 1-line block ×5, first 2 shown]
	ds_read_b32 v97, v78 offset:4228
	s_waitcnt lgkmcnt(5)
	v_lshrrev_b32_e32 v53, 16, v55
	s_waitcnt lgkmcnt(4)
	v_lshrrev_b32_e32 v92, 16, v52
	;; [unrolled: 2-line block ×3, first 2 shown]
	v_lshrrev_b32_e32 v90, 16, v38
	s_waitcnt lgkmcnt(2)
	v_lshrrev_b32_e32 v93, 16, v41
	v_lshrrev_b32_e32 v94, 16, v42
	s_waitcnt lgkmcnt(1)
	v_lshrrev_b32_e32 v95, 16, v39
	;; [unrolled: 3-line block ×3, first 2 shown]
	v_mov_b32_e32 v56, v51
.LBB0_7:
	s_or_b64 exec, exec, s[0:1]
	s_waitcnt lgkmcnt(5)
	v_lshrrev_b32_e32 v99, 16, v58
	v_mul_f16_sdwa v110, v8, v99 dst_sel:DWORD dst_unused:UNUSED_PAD src0_sel:WORD_1 src1_sel:DWORD
	s_waitcnt lgkmcnt(4)
	v_lshrrev_b32_e32 v100, 16, v65
	v_fma_f16 v110, v8, v58, v110
	v_mul_f16_sdwa v58, v8, v58 dst_sel:DWORD dst_unused:UNUSED_PAD src0_sel:WORD_1 src1_sel:DWORD
	v_fma_f16 v8, v8, v99, -v58
	v_mul_f16_sdwa v58, v9, v100 dst_sel:DWORD dst_unused:UNUSED_PAD src0_sel:WORD_1 src1_sel:DWORD
	v_lshrrev_b32_e32 v101, 16, v66
	v_fma_f16 v58, v9, v65, v58
	v_mul_f16_sdwa v65, v9, v65 dst_sel:DWORD dst_unused:UNUSED_PAD src0_sel:WORD_1 src1_sel:DWORD
	v_fma_f16 v9, v9, v100, -v65
	v_mul_f16_sdwa v65, v10, v101 dst_sel:DWORD dst_unused:UNUSED_PAD src0_sel:WORD_1 src1_sel:DWORD
	s_waitcnt lgkmcnt(3)
	v_lshrrev_b32_e32 v102, 16, v63
	v_fma_f16 v65, v10, v66, v65
	v_mul_f16_sdwa v66, v10, v66 dst_sel:DWORD dst_unused:UNUSED_PAD src0_sel:WORD_1 src1_sel:DWORD
	v_fma_f16 v10, v10, v101, -v66
	v_mul_f16_sdwa v66, v11, v102 dst_sel:DWORD dst_unused:UNUSED_PAD src0_sel:WORD_1 src1_sel:DWORD
	v_lshrrev_b32_e32 v104, 16, v64
	v_fma_f16 v66, v11, v63, v66
	v_mul_f16_sdwa v63, v11, v63 dst_sel:DWORD dst_unused:UNUSED_PAD src0_sel:WORD_1 src1_sel:DWORD
	v_fma_f16 v11, v11, v102, -v63
	;; [unrolled: 11-line block ×4, first 2 shown]
	v_mul_f16_sdwa v59, v35, v108 dst_sel:DWORD dst_unused:UNUSED_PAD src0_sel:WORD_1 src1_sel:DWORD
	s_waitcnt lgkmcnt(0)
	v_lshrrev_b32_e32 v109, 16, v103
	v_fma_f16 v59, v35, v60, v59
	v_mul_f16_sdwa v60, v35, v60 dst_sel:DWORD dst_unused:UNUSED_PAD src0_sel:WORD_1 src1_sel:DWORD
	v_fma_f16 v35, v35, v108, -v60
	v_mul_f16_sdwa v60, v36, v109 dst_sel:DWORD dst_unused:UNUSED_PAD src0_sel:WORD_1 src1_sel:DWORD
	v_mul_f16_sdwa v99, v36, v103 dst_sel:DWORD dst_unused:UNUSED_PAD src0_sel:WORD_1 src1_sel:DWORD
	v_fma_f16 v60, v36, v103, v60
	v_fma_f16 v36, v36, v109, -v99
	v_add_f16_e32 v99, v57, v110
	v_add_f16_sdwa v100, v57, v8 dst_sel:DWORD dst_unused:UNUSED_PAD src0_sel:WORD_1 src1_sel:DWORD
	v_add_f16_e32 v99, v99, v58
	v_add_f16_e32 v100, v100, v9
	;; [unrolled: 1-line block ×17, first 2 shown]
	v_sub_f16_e32 v8, v8, v36
	v_add_f16_e32 v99, v99, v60
	v_add_f16_e32 v100, v100, v36
	;; [unrolled: 1-line block ×3, first 2 shown]
	v_sub_f16_e32 v60, v110, v60
	s_mov_b32 s3, 0xb853
	v_mul_f16_e32 v36, 0xb853, v8
	s_movk_i32 s2, 0x3abb
	v_mul_f16_e32 v104, 0x3abb, v102
	s_movk_i32 s13, 0x3853
	s_mov_b32 s9, 0xbb47
	v_mul_f16_e32 v106, 0xbb47, v8
	s_movk_i32 s8, 0x36a6
	v_mul_f16_e32 v108, 0x36a6, v102
	s_movk_i32 s20, 0x3b47
	s_mov_b32 s14, 0xbbeb
	v_mul_f16_e32 v110, 0xbbeb, v8
	s_mov_b32 s12, 0xb08e
	v_mul_f16_e32 v112, 0xb08e, v102
	s_movk_i32 s19, 0x3beb
	s_mov_b32 s16, 0xba0c
	v_mul_f16_e32 v114, 0xba0c, v8
	s_mov_b32 s15, 0xb93d
	;; [unrolled: 5-line block ×3, first 2 shown]
	v_mul_f16_e32 v102, 0xbbad, v102
	s_movk_i32 s21, 0x3482
	v_fma_f16 v103, v101, s2, v36
	v_fma_f16 v105, v60, s13, v104
	v_fma_f16 v36, v101, s2, -v36
	v_fma_f16 v104, v60, s3, v104
	v_fma_f16 v107, v101, s8, v106
	v_fma_f16 v109, v60, s20, v108
	v_fma_f16 v106, v101, s8, -v106
	v_fma_f16 v108, v60, s9, v108
	;; [unrolled: 4-line block ×5, first 2 shown]
	v_add_f16_e32 v101, v9, v35
	v_sub_f16_e32 v9, v9, v35
	v_add_f16_e32 v103, v57, v103
	v_add_f16_sdwa v105, v57, v105 dst_sel:DWORD dst_unused:UNUSED_PAD src0_sel:WORD_1 src1_sel:DWORD
	v_add_f16_e32 v36, v57, v36
	v_add_f16_sdwa v104, v57, v104 dst_sel:DWORD dst_unused:UNUSED_PAD src0_sel:WORD_1 src1_sel:DWORD
	;; [unrolled: 2-line block ×10, first 2 shown]
	v_add_f16_e32 v60, v58, v59
	v_mul_f16_e32 v35, 0xbb47, v9
	v_sub_f16_e32 v58, v58, v59
	v_fma_f16 v59, v60, s8, v35
	v_mul_f16_e32 v102, 0x36a6, v101
	v_fma_f16 v35, v60, s8, -v35
	v_add_f16_e32 v59, v59, v103
	v_fma_f16 v103, v58, s20, v102
	v_add_f16_e32 v35, v35, v36
	v_fma_f16 v36, v58, s9, v102
	v_mul_f16_e32 v102, 0xba0c, v9
	v_add_f16_e32 v103, v103, v105
	v_add_f16_e32 v36, v36, v104
	v_fma_f16 v104, v60, s15, v102
	v_mul_f16_e32 v105, 0xb93d, v101
	v_fma_f16 v102, v60, s15, -v102
	v_add_f16_e32 v104, v104, v107
	v_fma_f16 v107, v58, s22, v105
	v_add_f16_e32 v102, v102, v106
	v_fma_f16 v105, v58, s16, v105
	v_mul_f16_e32 v106, 0x3482, v9
	v_add_f16_e32 v107, v107, v109
	v_add_f16_e32 v105, v105, v108
	;; [unrolled: 10-line block ×3, first 2 shown]
	v_fma_f16 v112, v60, s12, v110
	v_mul_f16_e32 v113, 0xb08e, v101
	v_fma_f16 v110, v60, s12, -v110
	v_mul_f16_e32 v9, 0x3853, v9
	v_add_f16_e32 v112, v112, v115
	v_fma_f16 v115, v58, s14, v113
	v_add_f16_e32 v110, v110, v114
	v_fma_f16 v113, v58, s19, v113
	v_fma_f16 v114, v60, s2, v9
	v_mul_f16_e32 v101, 0x3abb, v101
	v_fma_f16 v9, v60, s2, -v9
	v_add_f16_e32 v113, v113, v116
	v_fma_f16 v116, v58, s3, v101
	v_add_f16_e32 v8, v9, v8
	v_fma_f16 v9, v58, s13, v101
	v_add_f16_e32 v58, v10, v15
	v_sub_f16_e32 v10, v10, v15
	v_add_f16_e32 v9, v9, v57
	v_add_f16_e32 v57, v65, v62
	v_mul_f16_e32 v15, 0xbbeb, v10
	v_sub_f16_e32 v60, v65, v62
	v_fma_f16 v62, v57, s12, v15
	v_add_f16_e32 v59, v62, v59
	v_mul_f16_e32 v62, 0xb08e, v58
	v_fma_f16 v15, v57, s12, -v15
	v_add_f16_e32 v15, v15, v35
	v_fma_f16 v35, v60, s14, v62
	v_add_f16_e32 v35, v35, v36
	v_mul_f16_e32 v36, 0x3482, v10
	v_fma_f16 v65, v60, s19, v62
	v_fma_f16 v62, v57, s17, v36
	v_fma_f16 v36, v57, s17, -v36
	v_mul_f16_e32 v101, 0xbbad, v58
	v_add_f16_e32 v36, v36, v102
	v_mul_f16_e32 v102, 0x3b47, v10
	v_add_f16_e32 v65, v65, v103
	v_add_f16_e32 v62, v62, v104
	v_fma_f16 v103, v60, s18, v101
	v_fma_f16 v101, v60, s21, v101
	;; [unrolled: 1-line block ×3, first 2 shown]
	v_fma_f16 v102, v57, s8, -v102
	v_add_f16_e32 v101, v101, v105
	v_mul_f16_e32 v105, 0x36a6, v58
	v_add_f16_e32 v102, v102, v106
	v_mul_f16_e32 v106, 0xb853, v10
	v_add_f16_e32 v103, v103, v107
	v_add_f16_e32 v104, v104, v108
	v_fma_f16 v107, v60, s9, v105
	v_fma_f16 v105, v60, s20, v105
	;; [unrolled: 1-line block ×3, first 2 shown]
	v_fma_f16 v106, v57, s2, -v106
	v_mul_f16_e32 v10, 0xba0c, v10
	v_add_f16_e32 v105, v105, v109
	v_mul_f16_e32 v109, 0x3abb, v58
	v_add_f16_e32 v106, v106, v110
	v_fma_f16 v110, v57, s15, v10
	v_mul_f16_e32 v58, 0xb93d, v58
	v_fma_f16 v10, v57, s15, -v10
	v_add_f16_e32 v8, v10, v8
	v_fma_f16 v10, v60, s16, v58
	v_add_f16_e32 v57, v11, v14
	v_sub_f16_e32 v11, v11, v14
	v_add_f16_e32 v9, v10, v9
	v_add_f16_e32 v10, v66, v61
	v_mul_f16_e32 v14, 0xba0c, v11
	v_add_f16_e32 v107, v107, v111
	v_add_f16_e32 v108, v108, v112
	v_fma_f16 v111, v60, s13, v109
	v_fma_f16 v109, v60, s3, v109
	;; [unrolled: 1-line block ×4, first 2 shown]
	v_sub_f16_e32 v58, v66, v61
	v_add_f16_e32 v59, v60, v59
	v_mul_f16_e32 v60, 0xb93d, v57
	v_fma_f16 v14, v10, s15, -v14
	v_add_f16_e32 v14, v14, v15
	v_fma_f16 v15, v58, s16, v60
	v_add_f16_e32 v15, v15, v35
	v_mul_f16_e32 v35, 0x3beb, v11
	v_fma_f16 v61, v58, s22, v60
	v_fma_f16 v60, v10, s12, v35
	v_add_f16_e32 v60, v60, v62
	v_mul_f16_e32 v62, 0xb08e, v57
	v_fma_f16 v35, v10, s12, -v35
	v_add_f16_e32 v61, v61, v65
	v_fma_f16 v65, v58, s14, v62
	v_add_f16_e32 v35, v35, v36
	v_fma_f16 v36, v58, s19, v62
	v_mul_f16_e32 v62, 0xb853, v11
	v_fma_f16 v66, v10, s2, v62
	v_fma_f16 v62, v10, s2, -v62
	v_add_f16_e32 v36, v36, v101
	v_mul_f16_e32 v101, 0x3abb, v57
	v_add_f16_e32 v62, v62, v102
	v_mul_f16_e32 v102, 0xb482, v11
	v_add_f16_e32 v65, v65, v103
	v_add_f16_e32 v66, v66, v104
	v_fma_f16 v103, v58, s13, v101
	v_fma_f16 v101, v58, s3, v101
	;; [unrolled: 1-line block ×3, first 2 shown]
	v_fma_f16 v102, v10, s17, -v102
	v_mul_f16_e32 v11, 0x3b47, v11
	v_add_f16_e32 v101, v101, v105
	v_mul_f16_e32 v105, 0xbbad, v57
	v_add_f16_e32 v102, v102, v106
	v_fma_f16 v106, v10, s8, v11
	v_mul_f16_e32 v57, 0x36a6, v57
	v_fma_f16 v10, v10, s8, -v11
	v_add_f16_e32 v8, v10, v8
	v_fma_f16 v10, v58, s20, v57
	v_add_f16_e32 v11, v12, v13
	v_sub_f16_e32 v12, v12, v13
	v_add_f16_e32 v9, v10, v9
	v_add_f16_e32 v10, v63, v64
	v_mul_f16_e32 v13, 0xb482, v12
	v_add_f16_e32 v103, v103, v107
	v_add_f16_e32 v104, v104, v108
	v_fma_f16 v107, v58, s21, v105
	v_fma_f16 v105, v58, s18, v105
	;; [unrolled: 1-line block ×4, first 2 shown]
	v_sub_f16_e32 v57, v63, v64
	v_add_f16_e32 v58, v58, v59
	v_mul_f16_e32 v59, 0xbbad, v11
	v_fma_f16 v13, v10, s17, -v13
	v_add_f16_e32 v13, v13, v14
	v_fma_f16 v14, v57, s18, v59
	v_add_f16_e32 v14, v14, v15
	v_mul_f16_e32 v15, 0x3853, v12
	v_fma_f16 v63, v57, s21, v59
	v_fma_f16 v59, v10, s2, v15
	v_add_f16_e32 v59, v59, v60
	v_mul_f16_e32 v60, 0x3abb, v11
	v_fma_f16 v15, v10, s2, -v15
	v_add_f16_e32 v15, v15, v35
	v_fma_f16 v35, v57, s13, v60
	v_add_f16_e32 v35, v35, v36
	v_mul_f16_e32 v36, 0xba0c, v12
	v_add_f16_e32 v61, v63, v61
	v_fma_f16 v63, v57, s3, v60
	v_fma_f16 v60, v10, s15, v36
	v_mul_f16_e32 v64, 0xb93d, v11
	v_fma_f16 v36, v10, s15, -v36
	v_add_f16_e32 v63, v63, v65
	v_fma_f16 v65, v57, s22, v64
	v_add_f16_e32 v36, v36, v62
	v_fma_f16 v62, v57, s16, v64
	v_mul_f16_e32 v64, 0x3b47, v12
	v_add_f16_e32 v60, v60, v66
	v_fma_f16 v66, v10, s8, v64
	v_fma_f16 v64, v10, s8, -v64
	v_mul_f16_e32 v12, 0xbbeb, v12
	v_add_f16_e32 v109, v109, v113
	v_add_f16_e32 v62, v62, v101
	v_mul_f16_e32 v101, 0x36a6, v11
	v_add_f16_e32 v64, v64, v102
	v_fma_f16 v102, v10, s12, v12
	v_mul_f16_e32 v11, 0xb08e, v11
	v_fma_f16 v10, v10, s12, -v12
	v_add_f16_e32 v115, v115, v117
	v_add_f16_e32 v114, v114, v118
	;; [unrolled: 1-line block ×5, first 2 shown]
	v_fma_f16 v103, v57, s9, v101
	v_fma_f16 v101, v57, s20, v101
	v_add_f16_e32 v8, v10, v8
	v_fma_f16 v10, v57, s14, v11
	v_add_f16_e32 v111, v111, v115
	v_add_f16_e32 v110, v110, v114
	v_add_f16_e32 v112, v112, v116
	v_add_f16_e32 v101, v101, v105
	v_add_f16_e32 v9, v10, v9
	v_add_f16_e32 v107, v107, v111
	v_add_f16_e32 v106, v106, v110
	v_add_f16_e32 v108, v108, v112
	v_add_f16_e32 v66, v66, v104
	v_fma_f16 v104, v57, s19, v11
	v_pack_b32_f16 v10, v99, v100
	v_pack_b32_f16 v11, v58, v61
	;; [unrolled: 1-line block ×4, first 2 shown]
	v_add_f16_e32 v103, v103, v107
	v_add_f16_e32 v102, v102, v106
	;; [unrolled: 1-line block ×3, first 2 shown]
	s_barrier
	ds_write2_b32 v86, v10, v11 offset1:2
	v_pack_b32_f16 v10, v59, v63
	v_pack_b32_f16 v11, v60, v65
	ds_write2_b32 v86, v8, v9 offset0:12 offset1:14
	v_pack_b32_f16 v8, v36, v62
	v_pack_b32_f16 v9, v15, v35
	v_add_u32_e32 v51, 0x134, v78
	ds_write2_b32 v86, v10, v11 offset0:4 offset1:6
	v_pack_b32_f16 v10, v66, v103
	v_pack_b32_f16 v11, v102, v104
	ds_write2_b32 v86, v8, v9 offset0:16 offset1:18
	v_pack_b32_f16 v8, v13, v14
	ds_write2_b32 v86, v10, v11 offset0:8 offset1:10
	ds_write_b32 v86, v8 offset:80
	s_and_saveexec_b64 s[0:1], vcc
	s_cbranch_execz .LBB0_9
; %bb.8:
	v_mul_f16_sdwa v9, v0, v55 dst_sel:DWORD dst_unused:UNUSED_PAD src0_sel:WORD_1 src1_sel:DWORD
	v_mul_f16_sdwa v12, v0, v53 dst_sel:DWORD dst_unused:UNUSED_PAD src0_sel:WORD_1 src1_sel:DWORD
	;; [unrolled: 1-line block ×3, first 2 shown]
	v_fma_f16 v9, v0, v53, -v9
	v_fma_f16 v0, v0, v55, v12
	v_mul_f16_sdwa v12, v34, v98 dst_sel:DWORD dst_unused:UNUSED_PAD src0_sel:WORD_1 src1_sel:DWORD
	v_fma_f16 v8, v34, v98, -v8
	v_fma_f16 v12, v34, v97, v12
	v_lshrrev_b32_e32 v34, 16, v56
	v_mul_f16_sdwa v35, v1, v56 dst_sel:DWORD dst_unused:UNUSED_PAD src0_sel:WORD_1 src1_sel:DWORD
	v_mul_f16_sdwa v15, v33, v40 dst_sel:DWORD dst_unused:UNUSED_PAD src0_sel:WORD_1 src1_sel:DWORD
	v_fma_f16 v35, v1, v34, -v35
	v_mul_f16_sdwa v34, v1, v34 dst_sel:DWORD dst_unused:UNUSED_PAD src0_sel:WORD_1 src1_sel:DWORD
	v_add_f16_e32 v10, v8, v9
	v_fma_f16 v15, v33, v96, -v15
	v_fma_f16 v1, v1, v56, v34
	v_mul_f16_sdwa v34, v33, v96 dst_sel:DWORD dst_unused:UNUSED_PAD src0_sel:WORD_1 src1_sel:DWORD
	v_mul_f16_e32 v11, 0xbbad, v10
	v_sub_f16_e32 v13, v0, v12
	v_add_f16_e32 v36, v15, v35
	v_fma_f16 v33, v33, v40, v34
	v_fma_f16 v14, v13, s21, v11
	v_mul_f16_e32 v53, 0x3abb, v36
	v_sub_f16_e32 v34, v1, v33
	v_add_f16_sdwa v14, v54, v14 dst_sel:DWORD dst_unused:UNUSED_PAD src0_sel:WORD_1 src1_sel:DWORD
	v_fma_f16 v40, v34, s3, v53
	v_add_f16_e32 v14, v40, v14
	v_mul_f16_sdwa v40, v7, v39 dst_sel:DWORD dst_unused:UNUSED_PAD src0_sel:WORD_1 src1_sel:DWORD
	v_mul_f16_sdwa v55, v2, v52 dst_sel:DWORD dst_unused:UNUSED_PAD src0_sel:WORD_1 src1_sel:DWORD
	v_mul_f16_sdwa v58, v2, v92 dst_sel:DWORD dst_unused:UNUSED_PAD src0_sel:WORD_1 src1_sel:DWORD
	v_fma_f16 v40, v7, v95, -v40
	v_fma_f16 v55, v2, v92, -v55
	v_fma_f16 v2, v2, v52, v58
	v_mul_f16_sdwa v52, v7, v95 dst_sel:DWORD dst_unused:UNUSED_PAD src0_sel:WORD_1 src1_sel:DWORD
	v_add_f16_e32 v56, v40, v55
	v_fma_f16 v7, v7, v39, v52
	v_mul_f16_e32 v57, 0xb93d, v56
	v_sub_f16_e32 v39, v2, v7
	v_fma_f16 v52, v39, s22, v57
	v_add_f16_e32 v14, v52, v14
	v_mul_f16_sdwa v52, v6, v42 dst_sel:DWORD dst_unused:UNUSED_PAD src0_sel:WORD_1 src1_sel:DWORD
	v_mul_f16_sdwa v58, v3, v37 dst_sel:DWORD dst_unused:UNUSED_PAD src0_sel:WORD_1 src1_sel:DWORD
	v_mul_f16_sdwa v61, v3, v91 dst_sel:DWORD dst_unused:UNUSED_PAD src0_sel:WORD_1 src1_sel:DWORD
	v_fma_f16 v52, v6, v94, -v52
	v_fma_f16 v58, v3, v91, -v58
	v_fma_f16 v3, v3, v37, v61
	v_mul_f16_sdwa v37, v6, v94 dst_sel:DWORD dst_unused:UNUSED_PAD src0_sel:WORD_1 src1_sel:DWORD
	v_add_f16_e32 v59, v52, v58
	v_fma_f16 v6, v6, v42, v37
	v_mul_f16_e32 v60, 0x36a6, v59
	v_sub_f16_e32 v37, v3, v6
	;; [unrolled: 13-line block ×3, first 2 shown]
	v_fma_f16 v41, v38, s19, v63
	v_sub_f16_e32 v64, v9, v8
	v_add_f16_e32 v14, v41, v14
	v_add_f16_e32 v41, v12, v0
	v_mul_f16_e32 v65, 0xb482, v64
	v_sub_f16_e32 v90, v35, v15
	v_fma_f16 v66, v41, s17, v65
	v_add_f16_e32 v86, v33, v1
	v_mul_f16_e32 v91, 0x3853, v90
	v_add_f16_e32 v66, v54, v66
	v_fma_f16 v92, v86, s2, v91
	v_sub_f16_e32 v93, v55, v40
	v_add_f16_e32 v66, v92, v66
	v_add_f16_e32 v92, v7, v2
	v_mul_f16_e32 v94, 0xba0c, v93
	v_fma_f16 v95, v92, s15, v94
	v_sub_f16_e32 v96, v58, v52
	v_add_f16_e32 v66, v95, v66
	v_add_f16_e32 v95, v6, v3
	v_mul_f16_e32 v97, 0x3b47, v96
	;; [unrolled: 5-line block ×3, first 2 shown]
	v_fma_f16 v101, v98, s12, v100
	v_add_f16_e32 v66, v101, v66
	v_mul_f16_e32 v101, 0xb93d, v10
	v_fma_f16 v102, v13, s22, v101
	v_mul_f16_e32 v103, 0xb08e, v36
	v_add_f16_sdwa v102, v54, v102 dst_sel:DWORD dst_unused:UNUSED_PAD src0_sel:WORD_1 src1_sel:DWORD
	v_fma_f16 v104, v34, s14, v103
	v_add_f16_e32 v102, v104, v102
	v_mul_f16_e32 v104, 0x3abb, v56
	v_fma_f16 v105, v39, s13, v104
	v_add_f16_e32 v102, v105, v102
	v_mul_f16_e32 v105, 0xbbad, v59
	;; [unrolled: 3-line block ×4, first 2 shown]
	v_fma_f16 v108, v41, s15, v107
	v_mul_f16_e32 v109, 0x3beb, v90
	v_add_f16_e32 v108, v54, v108
	v_fma_f16 v110, v86, s12, v109
	v_add_f16_e32 v108, v110, v108
	v_mul_f16_e32 v110, 0xb853, v93
	v_fma_f16 v111, v92, s2, v110
	v_add_f16_e32 v0, v54, v0
	v_add_f16_e32 v108, v111, v108
	v_mul_f16_e32 v111, 0xb482, v96
	v_add_f16_e32 v0, v1, v0
	v_fma_f16 v112, v95, s17, v111
	v_add_f16_e32 v0, v2, v0
	v_fma_f16 v2, v13, s18, v11
	v_add_f16_e32 v108, v112, v108
	v_mul_f16_e32 v112, 0x3b47, v99
	v_add_f16_e32 v0, v3, v0
	v_add_f16_sdwa v2, v54, v2 dst_sel:DWORD dst_unused:UNUSED_PAD src0_sel:WORD_1 src1_sel:DWORD
	v_fma_f16 v3, v34, s13, v53
	v_fma_f16 v113, v98, s8, v112
	v_add_f16_e32 v2, v3, v2
	v_fma_f16 v3, v39, s16, v57
	v_add_f16_e32 v108, v113, v108
	v_mul_f16_e32 v113, 0xb08e, v10
	v_add_f16_e32 v2, v3, v2
	v_fma_f16 v3, v37, s20, v60
	v_fma_f16 v114, v13, s19, v113
	v_mul_f16_e32 v115, 0xbbad, v36
	v_add_f16_e32 v2, v3, v2
	v_fma_f16 v3, v38, s14, v63
	v_add_f16_sdwa v114, v54, v114 dst_sel:DWORD dst_unused:UNUSED_PAD src0_sel:WORD_1 src1_sel:DWORD
	v_fma_f16 v116, v34, s18, v115
	v_add_f16_e32 v2, v3, v2
	v_fma_f16 v3, v41, s17, -v65
	v_add_f16_e32 v114, v116, v114
	v_mul_f16_e32 v116, 0x36a6, v56
	v_add_f16_e32 v0, v4, v0
	v_add_f16_e32 v3, v54, v3
	v_fma_f16 v4, v86, s2, -v91
	v_fma_f16 v117, v39, s9, v116
	v_add_f16_e32 v3, v4, v3
	v_fma_f16 v4, v92, s15, -v94
	v_add_f16_e32 v114, v117, v114
	v_mul_f16_e32 v117, 0x3abb, v59
	v_add_f16_e32 v3, v4, v3
	v_fma_f16 v4, v95, s8, -v97
	v_fma_f16 v118, v37, s13, v117
	v_add_f16_e32 v3, v4, v3
	v_fma_f16 v4, v98, s12, -v100
	v_add_f16_e32 v114, v118, v114
	v_mul_f16_e32 v118, 0xb93d, v62
	v_add_f16_e32 v3, v4, v3
	v_fma_f16 v4, v13, s16, v101
	v_fma_f16 v119, v38, s22, v118
	v_add_f16_e32 v0, v5, v0
	v_add_f16_sdwa v4, v54, v4 dst_sel:DWORD dst_unused:UNUSED_PAD src0_sel:WORD_1 src1_sel:DWORD
	v_fma_f16 v5, v34, s19, v103
	v_add_f16_e32 v114, v119, v114
	v_mul_f16_e32 v119, 0xbbeb, v64
	v_add_f16_e32 v4, v5, v4
	v_fma_f16 v5, v39, s3, v104
	v_fma_f16 v120, v41, s12, v119
	v_mul_f16_e32 v121, 0x3482, v90
	v_add_f16_e32 v4, v5, v4
	v_fma_f16 v5, v37, s18, v105
	v_add_f16_e32 v120, v54, v120
	v_fma_f16 v122, v86, s17, v121
	;; [unrolled: 2-line block ×3, first 2 shown]
	v_add_f16_e32 v120, v122, v120
	v_mul_f16_e32 v122, 0x3b47, v93
	v_add_f16_e32 v4, v5, v4
	v_fma_f16 v5, v41, s15, -v107
	v_fma_f16 v123, v92, s8, v122
	v_add_f16_e32 v0, v6, v0
	v_add_f16_e32 v5, v54, v5
	v_fma_f16 v6, v86, s12, -v109
	v_add_f16_e32 v120, v123, v120
	v_mul_f16_e32 v123, 0xb853, v96
	v_add_f16_sdwa v1, v9, v54 dst_sel:DWORD dst_unused:UNUSED_PAD src0_sel:DWORD src1_sel:WORD_1
	v_add_f16_e32 v5, v6, v5
	v_fma_f16 v6, v92, s2, -v110
	v_fma_f16 v124, v95, s2, v123
	v_add_f16_e32 v1, v35, v1
	v_add_f16_e32 v5, v6, v5
	v_fma_f16 v6, v95, s17, -v111
	v_add_f16_e32 v120, v124, v120
	v_mul_f16_e32 v124, 0xba0c, v99
	v_add_f16_e32 v1, v55, v1
	v_add_f16_e32 v5, v6, v5
	v_fma_f16 v6, v98, s8, -v112
	v_fma_f16 v125, v98, s15, v124
	v_add_f16_e32 v1, v58, v1
	v_add_f16_e32 v5, v6, v5
	v_fma_f16 v6, v13, s14, v113
	v_add_f16_e32 v120, v125, v120
	v_mul_f16_e32 v125, 0x36a6, v10
	v_add_f16_e32 v0, v7, v0
	v_add_f16_e32 v1, v61, v1
	v_add_f16_sdwa v6, v54, v6 dst_sel:DWORD dst_unused:UNUSED_PAD src0_sel:WORD_1 src1_sel:DWORD
	v_fma_f16 v7, v34, s21, v115
	v_fma_f16 v126, v13, s20, v125
	v_mul_f16_e32 v127, 0xb93d, v36
	v_add_f16_e32 v1, v42, v1
	v_add_f16_e32 v6, v7, v6
	v_fma_f16 v7, v39, s20, v116
	v_add_f16_sdwa v126, v54, v126 dst_sel:DWORD dst_unused:UNUSED_PAD src0_sel:WORD_1 src1_sel:DWORD
	v_fma_f16 v128, v34, s22, v127
	v_add_f16_e32 v1, v52, v1
	v_add_f16_e32 v6, v7, v6
	v_fma_f16 v7, v37, s3, v117
	v_add_f16_e32 v126, v128, v126
	v_mul_f16_e32 v128, 0xbbad, v56
	v_add_f16_e32 v1, v40, v1
	v_add_f16_e32 v6, v7, v6
	v_fma_f16 v7, v38, s16, v118
	v_fma_f16 v129, v39, s18, v128
	v_add_f16_e32 v1, v15, v1
	v_add_f16_e32 v6, v7, v6
	v_fma_f16 v7, v41, s12, -v119
	v_add_f16_e32 v126, v129, v126
	v_mul_f16_e32 v129, 0xb08e, v59
	v_add_f16_e32 v1, v8, v1
	v_add_f16_e32 v7, v54, v7
	v_fma_f16 v8, v86, s17, -v121
	v_fma_f16 v130, v37, s14, v129
	v_add_f16_e32 v7, v8, v7
	v_fma_f16 v8, v92, s8, -v122
	v_add_f16_e32 v126, v130, v126
	v_mul_f16_e32 v130, 0x3abb, v62
	v_add_f16_e32 v7, v8, v7
	v_fma_f16 v8, v95, s2, -v123
	v_fma_f16 v131, v38, s3, v130
	v_add_f16_e32 v7, v8, v7
	v_fma_f16 v8, v98, s15, -v124
	v_add_f16_e32 v126, v131, v126
	v_mul_f16_e32 v131, 0xbb47, v64
	v_add_f16_e32 v7, v8, v7
	v_fma_f16 v8, v13, s9, v125
	v_fma_f16 v132, v41, s8, v131
	v_mul_f16_e32 v133, 0xba0c, v90
	v_add_f16_sdwa v8, v54, v8 dst_sel:DWORD dst_unused:UNUSED_PAD src0_sel:WORD_1 src1_sel:DWORD
	v_fma_f16 v9, v34, s16, v127
	v_add_f16_e32 v132, v54, v132
	v_fma_f16 v134, v86, s15, v133
	v_add_f16_e32 v8, v9, v8
	v_fma_f16 v9, v39, s21, v128
	v_add_f16_e32 v132, v134, v132
	v_mul_f16_e32 v134, 0x3482, v93
	v_add_f16_e32 v8, v9, v8
	v_fma_f16 v9, v37, s19, v129
	v_fma_f16 v135, v92, s17, v134
	v_add_f16_e32 v8, v9, v8
	v_fma_f16 v9, v38, s13, v130
	v_add_f16_e32 v132, v135, v132
	v_mul_f16_e32 v135, 0x3beb, v96
	v_add_f16_e32 v8, v9, v8
	v_fma_f16 v9, v41, s8, -v131
	v_fma_f16 v136, v95, s12, v135
	v_add_f16_e32 v9, v54, v9
	v_fma_f16 v11, v86, s15, -v133
	v_add_f16_e32 v132, v136, v132
	v_mul_f16_e32 v136, 0x3853, v99
	v_add_f16_e32 v9, v11, v9
	v_fma_f16 v11, v92, s17, -v134
	v_fma_f16 v137, v98, s2, v136
	v_mul_f16_e32 v10, 0x3abb, v10
	v_add_f16_e32 v9, v11, v9
	v_fma_f16 v11, v95, s12, -v135
	v_add_f16_e32 v132, v137, v132
	v_fma_f16 v137, v13, s13, v10
	v_mul_f16_e32 v36, 0x36a6, v36
	v_add_f16_e32 v9, v11, v9
	v_fma_f16 v11, v98, s2, -v136
	v_fma_f16 v10, v13, s3, v10
	v_mul_f16_e32 v56, 0xb08e, v56
	v_add_f16_e32 v9, v11, v9
	v_add_f16_sdwa v10, v54, v10 dst_sel:DWORD dst_unused:UNUSED_PAD src0_sel:WORD_1 src1_sel:DWORD
	v_fma_f16 v11, v34, s9, v36
	v_add_f16_sdwa v137, v54, v137 dst_sel:DWORD dst_unused:UNUSED_PAD src0_sel:WORD_1 src1_sel:DWORD
	v_fma_f16 v138, v34, s20, v36
	v_mul_f16_e32 v59, 0xb93d, v59
	v_add_f16_e32 v10, v11, v10
	v_fma_f16 v11, v39, s14, v56
	v_add_f16_e32 v137, v138, v137
	v_fma_f16 v138, v39, s19, v56
	v_mul_f16_e32 v62, 0xbbad, v62
	v_add_f16_e32 v10, v11, v10
	v_fma_f16 v11, v37, s16, v59
	v_add_f16_e32 v137, v138, v137
	;; [unrolled: 5-line block ×3, first 2 shown]
	v_fma_f16 v138, v38, s21, v62
	v_mul_f16_e32 v90, 0xbb47, v90
	v_add_f16_e32 v0, v33, v0
	v_add_f16_e32 v10, v11, v10
	v_fma_f16 v11, v41, s2, -v64
	v_add_f16_e32 v137, v138, v137
	v_fma_f16 v138, v41, s2, v64
	v_mul_f16_e32 v93, 0xbbeb, v93
	v_add_f16_e32 v0, v12, v0
	v_add_f16_e32 v11, v54, v11
	v_fma_f16 v12, v86, s8, -v90
	v_add_f16_e32 v138, v54, v138
	v_fma_f16 v139, v86, s8, v90
	v_mul_f16_e32 v96, 0xba0c, v96
	v_add_f16_e32 v11, v12, v11
	v_fma_f16 v12, v92, s12, -v93
	v_add_f16_e32 v138, v139, v138
	v_fma_f16 v139, v92, s12, v93
	v_mul_f16_e32 v99, 0xb482, v99
	v_add_f16_e32 v11, v12, v11
	v_fma_f16 v12, v95, s15, -v96
	v_add_f16_e32 v138, v139, v138
	v_fma_f16 v139, v95, s15, v96
	v_add_f16_e32 v11, v12, v11
	v_fma_f16 v12, v98, s17, -v99
	v_add_f16_e32 v138, v139, v138
	v_fma_f16 v139, v98, s17, v99
	v_add_f16_e32 v11, v12, v11
	v_mul_u32_u24_e32 v12, 22, v85
	v_add_f16_e32 v138, v139, v138
	v_or_b32_e32 v12, v12, v84
	v_lshl_add_u32 v12, v12, 2, v83
	v_pack_b32_f16 v0, v0, v1
	v_pack_b32_f16 v1, v138, v137
	ds_write2_b32 v12, v0, v1 offset1:2
	v_pack_b32_f16 v0, v132, v126
	v_pack_b32_f16 v1, v120, v114
	ds_write2_b32 v12, v0, v1 offset0:4 offset1:6
	v_pack_b32_f16 v0, v108, v102
	v_pack_b32_f16 v1, v66, v14
	ds_write2_b32 v12, v0, v1 offset0:8 offset1:10
	;; [unrolled: 3-line block ×4, first 2 shown]
	v_pack_b32_f16 v0, v11, v10
	ds_write_b32 v12, v0 offset:80
.LBB0_9:
	s_or_b64 exec, exec, s[0:1]
	s_waitcnt lgkmcnt(0)
	s_barrier
	ds_read2_b32 v[6:7], v78 offset0:154 offset1:231
	ds_read2_b32 v[8:9], v78 offset1:77
	v_add_u32_e32 v4, 0x400, v78
	ds_read2_b32 v[10:11], v4 offset0:52 offset1:129
	v_add_u32_e32 v5, 0x800, v78
	v_add_u32_e32 v0, 0x600, v78
	ds_read2_b32 v[14:15], v5 offset0:104 offset1:181
	ds_read2_b32 v[12:13], v0 offset0:78 offset1:155
	v_add_u32_e32 v2, 0xc00, v78
	s_waitcnt lgkmcnt(4)
	v_lshrrev_b32_e32 v1, 16, v6
	ds_read2_b32 v[33:34], v2 offset0:2 offset1:79
	ds_read2_b32 v[35:36], v2 offset0:156 offset1:233
	v_mul_f16_sdwa v56, v20, v1 dst_sel:DWORD dst_unused:UNUSED_PAD src0_sel:WORD_1 src1_sel:DWORD
	s_waitcnt lgkmcnt(4)
	v_lshrrev_b32_e32 v3, 16, v10
	v_fma_f16 v56, v20, v6, v56
	v_mul_f16_sdwa v6, v20, v6 dst_sel:DWORD dst_unused:UNUSED_PAD src0_sel:WORD_1 src1_sel:DWORD
	s_waitcnt lgkmcnt(3)
	v_lshrrev_b32_e32 v38, 16, v14
	v_fma_f16 v1, v20, v1, -v6
	v_mul_f16_sdwa v6, v21, v3 dst_sel:DWORD dst_unused:UNUSED_PAD src0_sel:WORD_1 src1_sel:DWORD
	s_waitcnt lgkmcnt(2)
	v_lshrrev_b32_e32 v37, 16, v12
	v_fma_f16 v6, v21, v10, v6
	v_mul_f16_sdwa v10, v21, v10 dst_sel:DWORD dst_unused:UNUSED_PAD src0_sel:WORD_1 src1_sel:DWORD
	v_mul_f16_sdwa v20, v23, v38 dst_sel:DWORD dst_unused:UNUSED_PAD src0_sel:WORD_1 src1_sel:DWORD
	s_waitcnt lgkmcnt(1)
	v_lshrrev_b32_e32 v39, 16, v33
	s_waitcnt lgkmcnt(0)
	v_lshrrev_b32_e32 v40, 16, v35
	v_fma_f16 v3, v21, v3, -v10
	v_mul_f16_sdwa v10, v22, v37 dst_sel:DWORD dst_unused:UNUSED_PAD src0_sel:WORD_1 src1_sel:DWORD
	v_fma_f16 v20, v23, v14, v20
	v_mul_f16_sdwa v14, v23, v14 dst_sel:DWORD dst_unused:UNUSED_PAD src0_sel:WORD_1 src1_sel:DWORD
	v_lshrrev_b32_e32 v41, 16, v7
	v_fma_f16 v10, v22, v12, v10
	v_mul_f16_sdwa v12, v22, v12 dst_sel:DWORD dst_unused:UNUSED_PAD src0_sel:WORD_1 src1_sel:DWORD
	v_fma_f16 v14, v23, v38, -v14
	v_mul_f16_sdwa v21, v45, v39 dst_sel:DWORD dst_unused:UNUSED_PAD src0_sel:WORD_1 src1_sel:DWORD
	v_mul_f16_sdwa v23, v46, v40 dst_sel:DWORD dst_unused:UNUSED_PAD src0_sel:WORD_1 src1_sel:DWORD
	v_fma_f16 v12, v22, v37, -v12
	v_fma_f16 v21, v45, v33, v21
	v_mul_f16_sdwa v22, v45, v33 dst_sel:DWORD dst_unused:UNUSED_PAD src0_sel:WORD_1 src1_sel:DWORD
	v_fma_f16 v23, v46, v35, v23
	v_mul_f16_sdwa v33, v46, v35 dst_sel:DWORD dst_unused:UNUSED_PAD src0_sel:WORD_1 src1_sel:DWORD
	v_mul_f16_sdwa v35, v16, v41 dst_sel:DWORD dst_unused:UNUSED_PAD src0_sel:WORD_1 src1_sel:DWORD
	v_lshrrev_b32_e32 v42, 16, v11
	v_fma_f16 v35, v16, v7, v35
	v_mul_f16_sdwa v7, v16, v7 dst_sel:DWORD dst_unused:UNUSED_PAD src0_sel:WORD_1 src1_sel:DWORD
	v_fma_f16 v7, v16, v41, -v7
	v_mul_f16_sdwa v16, v17, v42 dst_sel:DWORD dst_unused:UNUSED_PAD src0_sel:WORD_1 src1_sel:DWORD
	v_lshrrev_b32_e32 v52, 16, v13
	v_fma_f16 v16, v17, v11, v16
	v_mul_f16_sdwa v11, v17, v11 dst_sel:DWORD dst_unused:UNUSED_PAD src0_sel:WORD_1 src1_sel:DWORD
	v_fma_f16 v11, v17, v42, -v11
	;; [unrolled: 5-line block ×3, first 2 shown]
	v_mul_f16_sdwa v18, v19, v53 dst_sel:DWORD dst_unused:UNUSED_PAD src0_sel:WORD_1 src1_sel:DWORD
	v_lshrrev_b32_e32 v54, 16, v34
	v_lshrrev_b32_e32 v55, 16, v36
	v_fma_f16 v22, v45, v39, -v22
	v_fma_f16 v33, v46, v40, -v33
	v_fma_f16 v18, v19, v15, v18
	v_mul_f16_sdwa v15, v19, v15 dst_sel:DWORD dst_unused:UNUSED_PAD src0_sel:WORD_1 src1_sel:DWORD
	v_fma_f16 v15, v19, v53, -v15
	v_mul_f16_sdwa v19, v43, v54 dst_sel:DWORD dst_unused:UNUSED_PAD src0_sel:WORD_1 src1_sel:DWORD
	v_mul_f16_sdwa v37, v44, v55 dst_sel:DWORD dst_unused:UNUSED_PAD src0_sel:WORD_1 src1_sel:DWORD
	v_add_f16_e32 v38, v56, v23
	v_add_f16_e32 v39, v1, v33
	v_sub_f16_e32 v1, v1, v33
	v_add_f16_e32 v33, v6, v21
	v_add_f16_e32 v40, v3, v22
	v_fma_f16 v19, v43, v34, v19
	v_mul_f16_sdwa v34, v43, v34 dst_sel:DWORD dst_unused:UNUSED_PAD src0_sel:WORD_1 src1_sel:DWORD
	v_fma_f16 v37, v44, v36, v37
	v_mul_f16_sdwa v36, v44, v36 dst_sel:DWORD dst_unused:UNUSED_PAD src0_sel:WORD_1 src1_sel:DWORD
	v_sub_f16_e32 v23, v56, v23
	v_sub_f16_e32 v6, v6, v21
	;; [unrolled: 1-line block ×3, first 2 shown]
	v_add_f16_e32 v21, v10, v20
	v_add_f16_e32 v22, v12, v14
	v_sub_f16_e32 v10, v20, v10
	v_sub_f16_e32 v12, v14, v12
	v_add_f16_e32 v14, v33, v38
	v_add_f16_e32 v20, v40, v39
	v_fma_f16 v34, v43, v54, -v34
	v_fma_f16 v36, v44, v55, -v36
	v_sub_f16_e32 v41, v33, v38
	v_sub_f16_e32 v42, v40, v39
	;; [unrolled: 1-line block ×6, first 2 shown]
	v_add_f16_e32 v43, v10, v6
	v_add_f16_e32 v44, v12, v3
	v_sub_f16_e32 v45, v10, v6
	v_sub_f16_e32 v46, v12, v3
	;; [unrolled: 1-line block ×4, first 2 shown]
	v_add_f16_e32 v14, v21, v14
	v_add_f16_e32 v20, v22, v20
	v_sub_f16_e32 v10, v23, v10
	v_sub_f16_e32 v12, v1, v12
	v_add_f16_e32 v21, v43, v23
	v_add_f16_e32 v1, v44, v1
	;; [unrolled: 1-line block ×3, first 2 shown]
	v_add_f16_sdwa v8, v8, v20 dst_sel:DWORD dst_unused:UNUSED_PAD src0_sel:WORD_1 src1_sel:DWORD
	v_mul_f16_e32 v23, 0x3a52, v38
	v_mul_f16_e32 v38, 0x3a52, v39
	s_movk_i32 s1, 0x2b26
	v_mul_f16_e32 v39, 0x2b26, v33
	v_mul_f16_e32 v43, 0x2b26, v40
	;; [unrolled: 1-line block ×4, first 2 shown]
	s_mov_b32 s0, 0xbb00
	v_mul_f16_e32 v46, 0xbb00, v6
	v_mul_f16_e32 v52, 0xbb00, v3
	s_mov_b32 s2, 0xbcab
	s_movk_i32 s3, 0x39e0
	s_mov_b32 s9, 0xb9e0
	s_mov_b32 s12, 0xb574
	s_movk_i32 s13, 0x3574
	v_fma_f16 v14, v14, s2, v22
	v_fma_f16 v20, v20, s2, v8
	;; [unrolled: 1-line block ×4, first 2 shown]
	v_fma_f16 v39, v41, s3, -v39
	v_fma_f16 v43, v42, s3, -v43
	;; [unrolled: 1-line block ×4, first 2 shown]
	v_fma_f16 v41, v10, s12, v44
	v_fma_f16 v42, v12, s12, v45
	v_fma_f16 v3, v3, s0, -v45
	v_fma_f16 v10, v10, s13, -v46
	;; [unrolled: 1-line block ×3, first 2 shown]
	s_mov_b32 s8, 0xb70e
	v_fma_f16 v6, v6, s0, -v44
	v_add_f16_e32 v33, v33, v14
	v_add_f16_e32 v40, v40, v20
	;; [unrolled: 1-line block ×6, first 2 shown]
	v_fma_f16 v23, v21, s8, v41
	v_fma_f16 v38, v1, s8, v42
	;; [unrolled: 1-line block ×6, first 2 shown]
	v_add_f16_e32 v12, v38, v33
	v_sub_f16_e32 v21, v40, v23
	v_add_f16_e32 v41, v1, v14
	v_sub_f16_e32 v42, v20, v10
	v_sub_f16_e32 v1, v14, v1
	v_add_f16_e32 v10, v10, v20
	v_sub_f16_e32 v14, v33, v38
	v_add_f16_e32 v20, v23, v40
	v_add_f16_e32 v23, v35, v37
	;; [unrolled: 1-line block ×3, first 2 shown]
	v_sub_f16_e32 v35, v35, v37
	v_sub_f16_e32 v7, v7, v36
	v_add_f16_e32 v36, v16, v19
	v_add_f16_e32 v37, v11, v34
	v_sub_f16_e32 v16, v16, v19
	v_sub_f16_e32 v11, v11, v34
	v_add_f16_e32 v19, v17, v18
	v_add_f16_e32 v34, v13, v15
	;; [unrolled: 4-line block ×3, first 2 shown]
	v_sub_f16_e32 v44, v39, v3
	v_add_f16_e32 v45, v6, v43
	v_add_f16_e32 v3, v3, v39
	v_sub_f16_e32 v6, v43, v6
	v_sub_f16_e32 v38, v36, v23
	;; [unrolled: 1-line block ×7, first 2 shown]
	v_add_f16_e32 v40, v17, v16
	v_add_f16_e32 v43, v13, v11
	v_sub_f16_e32 v46, v17, v16
	v_sub_f16_e32 v52, v13, v11
	v_add_f16_e32 v15, v19, v15
	v_add_f16_e32 v18, v34, v18
	v_sub_f16_e32 v17, v35, v17
	v_sub_f16_e32 v13, v7, v13
	;; [unrolled: 1-line block ×4, first 2 shown]
	v_add_f16_e32 v19, v40, v35
	v_add_f16_e32 v7, v43, v7
	;; [unrolled: 1-line block ×3, first 2 shown]
	v_add_f16_sdwa v9, v9, v18 dst_sel:DWORD dst_unused:UNUSED_PAD src0_sel:WORD_1 src1_sel:DWORD
	v_mul_f16_e32 v23, 0x3a52, v23
	v_mul_f16_e32 v33, 0x3a52, v33
	;; [unrolled: 1-line block ×8, first 2 shown]
	v_fma_f16 v15, v15, s2, v34
	v_fma_f16 v18, v18, s2, v9
	;; [unrolled: 1-line block ×4, first 2 shown]
	v_fma_f16 v35, v38, s3, -v35
	v_fma_f16 v40, v39, s3, -v40
	;; [unrolled: 1-line block ×4, first 2 shown]
	v_fma_f16 v38, v17, s12, v43
	v_fma_f16 v39, v13, s12, v46
	v_fma_f16 v16, v16, s0, -v43
	v_fma_f16 v11, v11, s0, -v46
	;; [unrolled: 1-line block ×4, first 2 shown]
	v_add_f16_e32 v36, v36, v15
	v_add_f16_e32 v37, v37, v18
	;; [unrolled: 1-line block ×6, first 2 shown]
	v_fma_f16 v23, v19, s8, v38
	v_fma_f16 v33, v7, s8, v39
	v_pack_b32_f16 v3, v3, v6
	v_pack_b32_f16 v1, v1, v10
	v_fma_f16 v16, v19, s8, v16
	v_fma_f16 v11, v7, s8, v11
	;; [unrolled: 1-line block ×4, first 2 shown]
	v_add_f16_e32 v13, v33, v36
	v_sub_f16_e32 v19, v37, v23
	s_barrier
	v_pack_b32_f16 v8, v22, v8
	v_pack_b32_f16 v12, v12, v21
	ds_write2_b32 v87, v3, v1 offset0:88 offset1:110
	v_pack_b32_f16 v1, v14, v20
	v_add_f16_e32 v38, v7, v15
	v_sub_f16_e32 v39, v18, v17
	v_sub_f16_e32 v43, v35, v11
	v_add_f16_e32 v46, v16, v40
	ds_write2_b32 v87, v8, v12 offset1:22
	v_pack_b32_f16 v8, v41, v42
	v_pack_b32_f16 v12, v44, v45
	ds_write_b32 v87, v1 offset:528
	v_pack_b32_f16 v1, v34, v9
	v_pack_b32_f16 v3, v13, v19
	v_add_f16_e32 v11, v11, v35
	v_sub_f16_e32 v16, v40, v16
	v_sub_f16_e32 v7, v15, v7
	v_add_f16_e32 v15, v17, v18
	ds_write2_b32 v87, v8, v12 offset0:44 offset1:66
	ds_write2_b32 v88, v1, v3 offset1:22
	v_pack_b32_f16 v1, v38, v39
	v_pack_b32_f16 v3, v43, v46
	v_sub_f16_e32 v17, v36, v33
	v_add_f16_e32 v18, v23, v37
	ds_write2_b32 v88, v1, v3 offset0:44 offset1:66
	v_pack_b32_f16 v1, v11, v16
	v_pack_b32_f16 v3, v7, v15
	ds_write2_b32 v88, v1, v3 offset0:88 offset1:110
	v_pack_b32_f16 v1, v17, v18
	ds_write_b32 v88, v1 offset:528
	s_waitcnt lgkmcnt(0)
	s_barrier
	ds_read2_b32 v[6:7], v78 offset0:154 offset1:231
	ds_read2_b32 v[8:9], v78 offset1:77
	ds_read2_b32 v[10:11], v4 offset0:52 offset1:129
	ds_read2_b32 v[12:13], v0 offset0:78 offset1:155
	;; [unrolled: 1-line block ×5, first 2 shown]
	s_waitcnt lgkmcnt(4)
	v_lshrrev_b32_e32 v3, 16, v10
	s_waitcnt lgkmcnt(3)
	v_lshrrev_b32_e32 v20, 16, v12
	v_lshrrev_b32_e32 v1, 16, v6
	v_mul_f16_sdwa v39, v24, v1 dst_sel:DWORD dst_unused:UNUSED_PAD src0_sel:WORD_1 src1_sel:DWORD
	v_fma_f16 v39, v24, v6, v39
	v_mul_f16_sdwa v6, v24, v6 dst_sel:DWORD dst_unused:UNUSED_PAD src0_sel:WORD_1 src1_sel:DWORD
	v_fma_f16 v1, v24, v1, -v6
	v_mul_f16_sdwa v6, v25, v3 dst_sel:DWORD dst_unused:UNUSED_PAD src0_sel:WORD_1 src1_sel:DWORD
	v_fma_f16 v6, v25, v10, v6
	v_mul_f16_sdwa v10, v25, v10 dst_sel:DWORD dst_unused:UNUSED_PAD src0_sel:WORD_1 src1_sel:DWORD
	v_fma_f16 v3, v25, v3, -v10
	v_mul_f16_sdwa v10, v26, v20 dst_sel:DWORD dst_unused:UNUSED_PAD src0_sel:WORD_1 src1_sel:DWORD
	s_waitcnt lgkmcnt(2)
	v_lshrrev_b32_e32 v21, 16, v14
	v_fma_f16 v10, v26, v12, v10
	v_mul_f16_sdwa v12, v26, v12 dst_sel:DWORD dst_unused:UNUSED_PAD src0_sel:WORD_1 src1_sel:DWORD
	v_fma_f16 v12, v26, v20, -v12
	v_mul_f16_sdwa v20, v27, v21 dst_sel:DWORD dst_unused:UNUSED_PAD src0_sel:WORD_1 src1_sel:DWORD
	s_waitcnt lgkmcnt(1)
	v_lshrrev_b32_e32 v22, 16, v16
	;; [unrolled: 6-line block ×3, first 2 shown]
	v_fma_f16 v21, v47, v16, v21
	v_mul_f16_sdwa v16, v47, v16 dst_sel:DWORD dst_unused:UNUSED_PAD src0_sel:WORD_1 src1_sel:DWORD
	v_fma_f16 v16, v47, v22, -v16
	v_mul_f16_sdwa v22, v48, v23 dst_sel:DWORD dst_unused:UNUSED_PAD src0_sel:WORD_1 src1_sel:DWORD
	v_lshrrev_b32_e32 v33, 16, v7
	v_lshrrev_b32_e32 v34, 16, v11
	;; [unrolled: 1-line block ×4, first 2 shown]
	v_fma_f16 v22, v48, v18, v22
	v_mul_f16_sdwa v18, v48, v18 dst_sel:DWORD dst_unused:UNUSED_PAD src0_sel:WORD_1 src1_sel:DWORD
	v_fma_f16 v18, v48, v23, -v18
	v_mul_f16_sdwa v23, v28, v33 dst_sel:DWORD dst_unused:UNUSED_PAD src0_sel:WORD_1 src1_sel:DWORD
	v_mul_f16_sdwa v24, v29, v34 dst_sel:DWORD dst_unused:UNUSED_PAD src0_sel:WORD_1 src1_sel:DWORD
	;; [unrolled: 1-line block ×4, first 2 shown]
	v_lshrrev_b32_e32 v37, 16, v17
	v_lshrrev_b32_e32 v38, 16, v19
	v_fma_f16 v23, v28, v7, v23
	v_mul_f16_sdwa v7, v28, v7 dst_sel:DWORD dst_unused:UNUSED_PAD src0_sel:WORD_1 src1_sel:DWORD
	v_fma_f16 v24, v29, v11, v24
	v_mul_f16_sdwa v11, v29, v11 dst_sel:DWORD dst_unused:UNUSED_PAD src0_sel:WORD_1 src1_sel:DWORD
	;; [unrolled: 2-line block ×4, first 2 shown]
	v_fma_f16 v7, v28, v33, -v7
	v_fma_f16 v11, v29, v34, -v11
	;; [unrolled: 1-line block ×4, first 2 shown]
	v_mul_f16_sdwa v27, v49, v37 dst_sel:DWORD dst_unused:UNUSED_PAD src0_sel:WORD_1 src1_sel:DWORD
	v_mul_f16_sdwa v28, v50, v38 dst_sel:DWORD dst_unused:UNUSED_PAD src0_sel:WORD_1 src1_sel:DWORD
	v_add_f16_e32 v29, v39, v22
	v_add_f16_e32 v30, v1, v18
	v_sub_f16_e32 v1, v1, v18
	v_add_f16_e32 v18, v6, v21
	v_add_f16_e32 v31, v3, v16
	v_fma_f16 v27, v49, v17, v27
	v_mul_f16_sdwa v17, v49, v17 dst_sel:DWORD dst_unused:UNUSED_PAD src0_sel:WORD_1 src1_sel:DWORD
	v_fma_f16 v28, v50, v19, v28
	v_mul_f16_sdwa v19, v50, v19 dst_sel:DWORD dst_unused:UNUSED_PAD src0_sel:WORD_1 src1_sel:DWORD
	v_sub_f16_e32 v22, v39, v22
	v_sub_f16_e32 v6, v6, v21
	;; [unrolled: 1-line block ×3, first 2 shown]
	v_add_f16_e32 v16, v10, v20
	v_add_f16_e32 v21, v12, v14
	v_sub_f16_e32 v10, v20, v10
	v_sub_f16_e32 v12, v14, v12
	v_add_f16_e32 v14, v18, v29
	v_add_f16_e32 v20, v31, v30
	v_fma_f16 v17, v49, v37, -v17
	v_fma_f16 v19, v50, v38, -v19
	v_sub_f16_e32 v33, v18, v29
	v_sub_f16_e32 v34, v31, v30
	;; [unrolled: 1-line block ×6, first 2 shown]
	v_add_f16_e32 v35, v10, v6
	v_add_f16_e32 v36, v12, v3
	v_sub_f16_e32 v37, v10, v6
	v_sub_f16_e32 v38, v12, v3
	;; [unrolled: 1-line block ×4, first 2 shown]
	v_add_f16_e32 v14, v16, v14
	v_add_f16_e32 v16, v21, v20
	v_sub_f16_e32 v10, v22, v10
	v_sub_f16_e32 v12, v1, v12
	v_add_f16_e32 v20, v35, v22
	v_add_f16_e32 v1, v36, v1
	;; [unrolled: 1-line block ×3, first 2 shown]
	v_add_f16_sdwa v8, v8, v16 dst_sel:DWORD dst_unused:UNUSED_PAD src0_sel:WORD_1 src1_sel:DWORD
	v_mul_f16_e32 v22, 0x3a52, v29
	v_mul_f16_e32 v29, 0x3a52, v30
	;; [unrolled: 1-line block ×8, first 2 shown]
	v_fma_f16 v14, v14, s2, v21
	v_fma_f16 v16, v16, s2, v8
	;; [unrolled: 1-line block ×4, first 2 shown]
	v_fma_f16 v30, v33, s3, -v30
	v_fma_f16 v35, v34, s3, -v35
	;; [unrolled: 1-line block ×4, first 2 shown]
	v_fma_f16 v33, v10, s12, v36
	v_fma_f16 v34, v12, s12, v37
	v_fma_f16 v3, v3, s0, -v37
	v_fma_f16 v10, v10, s13, -v38
	;; [unrolled: 1-line block ×4, first 2 shown]
	v_add_f16_e32 v18, v18, v14
	v_add_f16_e32 v31, v31, v16
	;; [unrolled: 1-line block ×6, first 2 shown]
	v_fma_f16 v22, v20, s8, v33
	v_fma_f16 v29, v1, s8, v34
	;; [unrolled: 1-line block ×6, first 2 shown]
	v_add_f16_e32 v12, v29, v18
	v_sub_f16_e32 v20, v31, v22
	v_add_f16_e32 v33, v1, v14
	v_sub_f16_e32 v34, v16, v10
	v_sub_f16_e32 v1, v14, v1
	v_add_f16_e32 v10, v10, v16
	v_sub_f16_e32 v14, v18, v29
	v_add_f16_e32 v16, v22, v31
	v_add_f16_e32 v18, v23, v28
	;; [unrolled: 1-line block ×3, first 2 shown]
	v_sub_f16_e32 v23, v23, v28
	v_sub_f16_e32 v7, v7, v19
	v_add_f16_e32 v19, v24, v27
	v_add_f16_e32 v28, v11, v17
	v_sub_f16_e32 v24, v24, v27
	v_sub_f16_e32 v11, v11, v17
	v_add_f16_e32 v17, v25, v26
	v_add_f16_e32 v27, v13, v15
	;; [unrolled: 4-line block ×3, first 2 shown]
	v_sub_f16_e32 v36, v30, v3
	v_add_f16_e32 v37, v6, v35
	v_add_f16_e32 v3, v3, v30
	v_sub_f16_e32 v6, v35, v6
	v_sub_f16_e32 v29, v19, v18
	;; [unrolled: 1-line block ×7, first 2 shown]
	v_add_f16_e32 v31, v25, v24
	v_add_f16_e32 v35, v13, v11
	v_sub_f16_e32 v38, v25, v24
	v_sub_f16_e32 v39, v13, v11
	;; [unrolled: 1-line block ×4, first 2 shown]
	v_add_f16_e32 v15, v17, v15
	v_add_f16_e32 v17, v27, v26
	v_sub_f16_e32 v25, v23, v25
	v_sub_f16_e32 v13, v7, v13
	v_add_f16_e32 v23, v31, v23
	v_add_f16_e32 v7, v35, v7
	;; [unrolled: 1-line block ×3, first 2 shown]
	v_add_f16_sdwa v9, v9, v17 dst_sel:DWORD dst_unused:UNUSED_PAD src0_sel:WORD_1 src1_sel:DWORD
	v_mul_f16_e32 v18, 0x3a52, v18
	v_mul_f16_e32 v22, 0x3a52, v22
	;; [unrolled: 1-line block ×8, first 2 shown]
	v_fma_f16 v15, v15, s2, v26
	v_fma_f16 v17, v17, s2, v9
	;; [unrolled: 1-line block ×4, first 2 shown]
	v_fma_f16 v27, v29, s3, -v27
	v_fma_f16 v31, v30, s3, -v31
	;; [unrolled: 1-line block ×4, first 2 shown]
	v_fma_f16 v29, v25, s12, v35
	v_fma_f16 v30, v13, s12, v38
	v_fma_f16 v24, v24, s0, -v35
	v_fma_f16 v11, v11, s0, -v38
	;; [unrolled: 1-line block ×4, first 2 shown]
	v_add_f16_e32 v19, v19, v15
	v_add_f16_e32 v28, v28, v17
	;; [unrolled: 1-line block ×6, first 2 shown]
	v_fma_f16 v18, v23, s8, v29
	v_fma_f16 v22, v7, s8, v30
	v_fma_f16 v24, v23, s8, v24
	v_fma_f16 v11, v7, s8, v11
	v_fma_f16 v23, v23, s8, v25
	v_fma_f16 v7, v7, s8, v13
	v_pack_b32_f16 v8, v21, v8
	v_add_f16_e32 v13, v22, v19
	v_add_f16_e32 v29, v7, v15
	v_sub_f16_e32 v30, v17, v23
	v_sub_f16_e32 v7, v15, v7
	v_add_f16_e32 v15, v23, v17
	v_sub_f16_e32 v17, v19, v22
	ds_write_b32 v78, v8
	v_pack_b32_f16 v8, v12, v20
	v_pack_b32_f16 v12, v33, v34
	v_add_u32_e32 v19, 0x200, v78
	ds_write2_b32 v19, v8, v12 offset0:26 offset1:180
	v_pack_b32_f16 v8, v36, v37
	v_pack_b32_f16 v3, v3, v6
	;; [unrolled: 1-line block ×3, first 2 shown]
	v_add_u32_e32 v6, 0x900, v89
	ds_write_b32 v78, v8 offset:1848
	ds_write2_b32 v6, v3, v1 offset0:40 offset1:194
	v_pack_b32_f16 v1, v14, v16
	v_sub_f16_e32 v25, v28, v18
	ds_write_b32 v89, v1 offset:3696
	v_pack_b32_f16 v1, v26, v9
	v_sub_f16_e32 v35, v27, v11
	v_add_f16_e32 v38, v24, v31
	v_add_f16_e32 v11, v11, v27
	v_sub_f16_e32 v24, v31, v24
	ds_write_b32 v78, v1 offset:308
	v_pack_b32_f16 v1, v13, v25
	v_pack_b32_f16 v3, v29, v30
	v_add_u32_e32 v6, 0x200, v51
	v_add_f16_e32 v18, v18, v28
	ds_write2_b32 v6, v1, v3 offset0:26 offset1:180
	v_pack_b32_f16 v1, v35, v38
	v_pack_b32_f16 v3, v11, v24
	v_add_u32_e32 v6, 0x600, v51
	ds_write2_b32 v6, v1, v3 offset0:78 offset1:232
	v_pack_b32_f16 v1, v7, v15
	v_pack_b32_f16 v3, v17, v18
	v_add_u32_e32 v6, 0xc00, v51
	ds_write2_b32 v6, v1, v3 offset0:2 offset1:156
	s_waitcnt lgkmcnt(0)
	s_barrier
	ds_read2_b32 v[6:7], v78 offset1:77
	s_mov_b32 s2, 0xdbe74d6b
	s_mov_b32 s3, 0x3f4e65a3
	v_mad_u64_u32 v[8:9], s[0:1], s6, v32, 0
	s_waitcnt lgkmcnt(0)
	v_lshrrev_b32_e32 v3, 16, v6
	v_mul_f16_sdwa v1, v82, v3 dst_sel:DWORD dst_unused:UNUSED_PAD src0_sel:WORD_1 src1_sel:DWORD
	v_fma_f16 v1, v82, v6, v1
	v_cvt_f32_f16_e32 v1, v1
	s_movk_i32 s6, 0x1ff
	v_mul_f16_sdwa v6, v82, v6 dst_sel:DWORD dst_unused:UNUSED_PAD src0_sel:WORD_1 src1_sel:DWORD
	v_fma_f16 v3, v82, v3, -v6
	v_cvt_f64_f32_e32 v[10:11], v1
	v_mov_b32_e32 v1, v9
	v_mad_u64_u32 v[12:13], s[0:1], s7, v32, v[1:2]
	v_mul_f64 v[10:11], v[10:11], s[2:3]
	s_movk_i32 s7, 0xffe
	v_mov_b32_e32 v9, v12
	v_cvt_f32_f16_e32 v6, v3
	v_mov_b32_e32 v3, 0x7c00
	s_movk_i32 s8, 0x40f
	s_mov_b32 s9, 0x8000
	v_lshlrev_b64 v[8:9], 2, v[8:9]
	v_and_or_b32 v1, v11, s6, v10
	v_cmp_ne_u32_e32 vcc, 0, v1
	v_cndmask_b32_e64 v1, 0, 1, vcc
	v_lshrrev_b32_e32 v10, 8, v11
	v_bfe_u32 v12, v11, 20, 11
	v_and_or_b32 v1, v10, s7, v1
	v_sub_u32_e32 v13, 0x3f1, v12
	v_or_b32_e32 v10, 0x1000, v1
	v_med3_i32 v13, v13, 0, 13
	v_lshrrev_b32_e32 v14, v13, v10
	v_lshlrev_b32_e32 v13, v13, v14
	v_cmp_ne_u32_e32 vcc, v13, v10
	v_cndmask_b32_e64 v10, 0, 1, vcc
	v_or_b32_e32 v10, v14, v10
	v_add_u32_e32 v14, 0xfffffc10, v12
	v_lshl_or_b32 v12, v14, 12, v1
	v_cmp_gt_i32_e32 vcc, 1, v14
	v_cndmask_b32_e32 v10, v12, v10, vcc
	v_and_b32_e32 v12, 7, v10
	v_cmp_lt_i32_e32 vcc, 5, v12
	v_cmp_eq_u32_e64 s[0:1], 3, v12
	v_cvt_f64_f32_e32 v[12:13], v6
	v_lshrrev_b32_e32 v10, 2, v10
	s_or_b64 vcc, s[0:1], vcc
	v_addc_co_u32_e32 v10, vcc, 0, v10, vcc
	v_mul_f64 v[12:13], v[12:13], s[2:3]
	v_cmp_gt_i32_e32 vcc, 31, v14
	v_cndmask_b32_e32 v6, v3, v10, vcc
	v_cmp_ne_u32_e32 vcc, 0, v1
	v_cndmask_b32_e64 v1, 0, 1, vcc
	v_lshl_or_b32 v1, v1, 9, v3
	v_cmp_eq_u32_e32 vcc, s8, v14
	v_cndmask_b32_e32 v1, v6, v1, vcc
	v_lshrrev_b32_e32 v6, 16, v11
	v_and_or_b32 v14, v6, s9, v1
	v_and_or_b32 v1, v13, s6, v12
	v_cmp_ne_u32_e32 vcc, 0, v1
	v_cndmask_b32_e64 v1, 0, 1, vcc
	v_lshrrev_b32_e32 v6, 8, v13
	v_bfe_u32 v10, v13, 20, 11
	v_and_or_b32 v1, v6, s7, v1
	v_sub_u32_e32 v11, 0x3f1, v10
	v_or_b32_e32 v6, 0x1000, v1
	v_med3_i32 v11, v11, 0, 13
	v_lshrrev_b32_e32 v12, v11, v6
	v_lshlrev_b32_e32 v11, v11, v12
	v_cmp_ne_u32_e32 vcc, v11, v6
	v_cndmask_b32_e64 v6, 0, 1, vcc
	v_or_b32_e32 v6, v12, v6
	v_add_u32_e32 v12, 0xfffffc10, v10
	v_lshl_or_b32 v10, v12, 12, v1
	v_cmp_gt_i32_e32 vcc, 1, v12
	v_cndmask_b32_e32 v6, v10, v6, vcc
	v_and_b32_e32 v10, 7, v6
	v_cmp_lt_i32_e32 vcc, 5, v10
	v_cmp_eq_u32_e64 s[0:1], 3, v10
	v_lshrrev_b32_e32 v6, 2, v6
	s_or_b64 vcc, s[0:1], vcc
	v_addc_co_u32_e32 v6, vcc, 0, v6, vcc
	v_cmp_gt_i32_e32 vcc, 31, v12
	v_cndmask_b32_e32 v6, v3, v6, vcc
	v_cmp_ne_u32_e32 vcc, 0, v1
	v_cndmask_b32_e64 v1, 0, 1, vcc
	v_lshl_or_b32 v1, v1, 9, v3
	v_cmp_eq_u32_e32 vcc, s8, v12
	v_mad_u64_u32 v[10:11], s[0:1], s4, v81, 0
	v_cndmask_b32_e32 v15, v6, v1, vcc
	ds_read2_b32 v[0:1], v0 offset0:78 offset1:155
	v_mov_b32_e32 v6, v11
	v_mad_u64_u32 v[11:12], s[0:1], s5, v81, v[6:7]
	v_lshrrev_b32_e32 v13, 16, v13
	s_waitcnt lgkmcnt(0)
	v_lshrrev_b32_e32 v6, 16, v1
	v_mul_f16_sdwa v12, v80, v6 dst_sel:DWORD dst_unused:UNUSED_PAD src0_sel:WORD_1 src1_sel:DWORD
	v_fma_f16 v12, v80, v1, v12
	v_cvt_f32_f16_e32 v12, v12
	v_and_or_b32 v15, v13, s9, v15
	v_and_b32_e32 v14, 0xffff, v14
	v_lshl_or_b32 v14, v15, 16, v14
	v_cvt_f64_f32_e32 v[12:13], v12
	v_mov_b32_e32 v15, s11
	v_add_co_u32_e32 v16, vcc, s10, v8
	v_mul_f64 v[12:13], v[12:13], s[2:3]
	v_addc_co_u32_e32 v15, vcc, v15, v9, vcc
	v_lshlrev_b64 v[8:9], 2, v[10:11]
	v_mul_f16_sdwa v1, v80, v1 dst_sel:DWORD dst_unused:UNUSED_PAD src0_sel:WORD_1 src1_sel:DWORD
	v_add_co_u32_e32 v8, vcc, v16, v8
	v_addc_co_u32_e32 v9, vcc, v15, v9, vcc
	v_and_or_b32 v10, v13, s6, v12
	v_cmp_ne_u32_e32 vcc, 0, v10
	v_cndmask_b32_e64 v10, 0, 1, vcc
	v_lshrrev_b32_e32 v11, 8, v13
	v_and_or_b32 v12, v11, s7, v10
	v_bfe_u32 v11, v13, 20, 11
	global_store_dword v[8:9], v14, off
	v_sub_u32_e32 v14, 0x3f1, v11
	v_or_b32_e32 v10, 0x1000, v12
	v_med3_i32 v14, v14, 0, 13
	v_lshrrev_b32_e32 v15, v14, v10
	v_lshlrev_b32_e32 v14, v14, v15
	v_cmp_ne_u32_e32 vcc, v14, v10
	v_fma_f16 v1, v80, v6, -v1
	v_cndmask_b32_e64 v10, 0, 1, vcc
	v_add_u32_e32 v14, 0xfffffc10, v11
	v_cvt_f32_f16_e32 v1, v1
	v_or_b32_e32 v10, v15, v10
	v_lshl_or_b32 v11, v14, 12, v12
	v_cmp_gt_i32_e32 vcc, 1, v14
	v_cndmask_b32_e32 v10, v11, v10, vcc
	v_and_b32_e32 v11, 7, v10
	v_cmp_lt_i32_e32 vcc, 5, v11
	v_cmp_eq_u32_e64 s[0:1], 3, v11
	v_lshrrev_b32_e32 v6, 2, v10
	v_cvt_f64_f32_e32 v[10:11], v1
	s_or_b64 vcc, s[0:1], vcc
	v_addc_co_u32_e32 v1, vcc, 0, v6, vcc
	v_mul_f64 v[10:11], v[10:11], s[2:3]
	v_cmp_gt_i32_e32 vcc, 31, v14
	v_cndmask_b32_e32 v1, v3, v1, vcc
	v_cmp_ne_u32_e32 vcc, 0, v12
	v_cndmask_b32_e64 v6, 0, 1, vcc
	v_lshl_or_b32 v6, v6, 9, v3
	v_cmp_eq_u32_e32 vcc, s8, v14
	v_cndmask_b32_e32 v1, v1, v6, vcc
	v_lshrrev_b32_e32 v6, 16, v13
	v_and_or_b32 v1, v6, s9, v1
	v_and_or_b32 v6, v11, s6, v10
	v_cmp_ne_u32_e32 vcc, 0, v6
	v_cndmask_b32_e64 v6, 0, 1, vcc
	v_lshrrev_b32_e32 v10, 8, v11
	v_bfe_u32 v12, v11, 20, 11
	v_and_or_b32 v6, v10, s7, v6
	v_sub_u32_e32 v13, 0x3f1, v12
	v_or_b32_e32 v10, 0x1000, v6
	v_med3_i32 v13, v13, 0, 13
	v_lshrrev_b32_e32 v14, v13, v10
	v_lshlrev_b32_e32 v13, v13, v14
	v_cmp_ne_u32_e32 vcc, v13, v10
	v_cndmask_b32_e64 v10, 0, 1, vcc
	v_add_u32_e32 v12, 0xfffffc10, v12
	v_or_b32_e32 v10, v14, v10
	v_lshl_or_b32 v13, v12, 12, v6
	v_cmp_gt_i32_e32 vcc, 1, v12
	v_cndmask_b32_e32 v10, v13, v10, vcc
	v_and_b32_e32 v13, 7, v10
	v_cmp_lt_i32_e32 vcc, 5, v13
	v_cmp_eq_u32_e64 s[0:1], 3, v13
	v_lshrrev_b32_e32 v10, 2, v10
	s_or_b64 vcc, s[0:1], vcc
	v_addc_co_u32_e32 v10, vcc, 0, v10, vcc
	v_cmp_gt_i32_e32 vcc, 31, v12
	v_cndmask_b32_e32 v10, v3, v10, vcc
	v_cmp_ne_u32_e32 vcc, 0, v6
	v_cndmask_b32_e64 v6, 0, 1, vcc
	v_lshl_or_b32 v6, v6, 9, v3
	v_cmp_eq_u32_e32 vcc, s8, v12
	v_lshrrev_b32_e32 v12, 16, v7
	v_cndmask_b32_e32 v6, v10, v6, vcc
	v_lshrrev_b32_e32 v10, 16, v11
	v_mul_f16_sdwa v11, v79, v12 dst_sel:DWORD dst_unused:UNUSED_PAD src0_sel:WORD_1 src1_sel:DWORD
	v_fma_f16 v11, v79, v7, v11
	v_cvt_f32_f16_e32 v11, v11
	v_and_or_b32 v6, v10, s9, v6
	s_mul_i32 s0, s5, 0x86c
	s_mul_hi_u32 s10, s4, 0x86c
	v_cvt_f64_f32_e32 v[10:11], v11
	v_and_b32_e32 v1, 0xffff, v1
	s_add_i32 s10, s10, s0
	s_mul_i32 s11, s4, 0x86c
	v_mul_f64 v[10:11], v[10:11], s[2:3]
	v_lshl_or_b32 v1, v6, 16, v1
	v_mov_b32_e32 v6, s10
	v_add_co_u32_e32 v8, vcc, s11, v8
	v_addc_co_u32_e32 v9, vcc, v9, v6, vcc
	global_store_dword v[8:9], v1, off
	v_and_or_b32 v1, v11, s6, v10
	v_cmp_ne_u32_e32 vcc, 0, v1
	v_cndmask_b32_e64 v1, 0, 1, vcc
	v_lshrrev_b32_e32 v6, 8, v11
	v_bfe_u32 v10, v11, 20, 11
	v_and_or_b32 v1, v6, s7, v1
	v_sub_u32_e32 v13, 0x3f1, v10
	v_or_b32_e32 v6, 0x1000, v1
	v_med3_i32 v13, v13, 0, 13
	v_lshrrev_b32_e32 v14, v13, v6
	v_mul_f16_sdwa v7, v79, v7 dst_sel:DWORD dst_unused:UNUSED_PAD src0_sel:WORD_1 src1_sel:DWORD
	v_lshlrev_b32_e32 v13, v13, v14
	v_fma_f16 v7, v79, v12, -v7
	v_cmp_ne_u32_e32 vcc, v13, v6
	v_cvt_f32_f16_e32 v7, v7
	v_cndmask_b32_e64 v6, 0, 1, vcc
	v_add_u32_e32 v10, 0xfffffc10, v10
	v_or_b32_e32 v6, v14, v6
	v_lshl_or_b32 v13, v10, 12, v1
	v_cmp_gt_i32_e32 vcc, 1, v10
	v_cndmask_b32_e32 v6, v13, v6, vcc
	v_and_b32_e32 v13, 7, v6
	v_lshrrev_b32_e32 v12, 2, v6
	v_cvt_f64_f32_e32 v[6:7], v7
	v_cmp_lt_i32_e32 vcc, 5, v13
	v_cmp_eq_u32_e64 s[0:1], 3, v13
	s_or_b64 vcc, s[0:1], vcc
	v_mul_f64 v[6:7], v[6:7], s[2:3]
	v_addc_co_u32_e32 v12, vcc, 0, v12, vcc
	v_cmp_gt_i32_e32 vcc, 31, v10
	v_cndmask_b32_e32 v12, v3, v12, vcc
	v_cmp_ne_u32_e32 vcc, 0, v1
	v_cndmask_b32_e64 v1, 0, 1, vcc
	v_lshl_or_b32 v1, v1, 9, v3
	v_cmp_eq_u32_e32 vcc, s8, v10
	v_and_or_b32 v6, v7, s6, v6
	v_cndmask_b32_e32 v1, v12, v1, vcc
	v_lshrrev_b32_e32 v10, 16, v11
	v_cmp_ne_u32_e32 vcc, 0, v6
	v_and_or_b32 v1, v10, s9, v1
	v_cndmask_b32_e64 v6, 0, 1, vcc
	v_lshrrev_b32_e32 v10, 8, v7
	v_bfe_u32 v11, v7, 20, 11
	v_and_or_b32 v6, v10, s7, v6
	v_sub_u32_e32 v12, 0x3f1, v11
	v_or_b32_e32 v10, 0x1000, v6
	v_med3_i32 v12, v12, 0, 13
	v_lshrrev_b32_e32 v13, v12, v10
	v_lshlrev_b32_e32 v12, v12, v13
	v_cmp_ne_u32_e32 vcc, v12, v10
	v_cndmask_b32_e64 v10, 0, 1, vcc
	v_add_u32_e32 v11, 0xfffffc10, v11
	v_or_b32_e32 v10, v13, v10
	v_lshl_or_b32 v12, v11, 12, v6
	v_cmp_gt_i32_e32 vcc, 1, v11
	v_cndmask_b32_e32 v10, v12, v10, vcc
	v_and_b32_e32 v12, 7, v10
	v_cmp_lt_i32_e32 vcc, 5, v12
	v_cmp_eq_u32_e64 s[0:1], 3, v12
	v_lshrrev_b32_e32 v10, 2, v10
	s_or_b64 vcc, s[0:1], vcc
	v_addc_co_u32_e32 v10, vcc, 0, v10, vcc
	v_cmp_gt_i32_e32 vcc, 31, v11
	v_cndmask_b32_e32 v10, v3, v10, vcc
	v_cmp_ne_u32_e32 vcc, 0, v6
	v_cndmask_b32_e64 v6, 0, 1, vcc
	v_lshl_or_b32 v12, v6, 9, v3
	ds_read2_b32 v[5:6], v5 offset0:104 offset1:181
	v_cmp_eq_u32_e32 vcc, s8, v11
	v_cndmask_b32_e32 v10, v10, v12, vcc
	v_lshrrev_b32_e32 v7, 16, v7
	v_and_or_b32 v7, v7, s9, v10
	s_waitcnt lgkmcnt(0)
	v_lshrrev_b32_e32 v12, 16, v5
	v_mul_f16_sdwa v10, v77, v12 dst_sel:DWORD dst_unused:UNUSED_PAD src0_sel:WORD_1 src1_sel:DWORD
	v_fma_f16 v10, v77, v5, v10
	v_cvt_f32_f16_e32 v10, v10
	s_mul_hi_u32 s1, s4, 0xfffff8c8
	s_mul_i32 s0, s5, 0xfffff8c8
	s_sub_i32 s5, s1, s4
	v_cvt_f64_f32_e32 v[10:11], v10
	v_and_b32_e32 v1, 0xffff, v1
	s_add_i32 s5, s5, s0
	s_mulk_i32 s4, 0xf8c8
	v_mul_f64 v[10:11], v[10:11], s[2:3]
	v_lshl_or_b32 v1, v7, 16, v1
	v_mov_b32_e32 v13, s5
	v_add_co_u32_e32 v7, vcc, s4, v8
	v_addc_co_u32_e32 v8, vcc, v9, v13, vcc
	global_store_dword v[7:8], v1, off
	v_and_or_b32 v1, v11, s6, v10
	v_cmp_ne_u32_e32 vcc, 0, v1
	v_cndmask_b32_e64 v1, 0, 1, vcc
	v_lshrrev_b32_e32 v9, 8, v11
	v_bfe_u32 v10, v11, 20, 11
	v_and_or_b32 v1, v9, s7, v1
	v_sub_u32_e32 v13, 0x3f1, v10
	v_or_b32_e32 v9, 0x1000, v1
	v_med3_i32 v13, v13, 0, 13
	v_lshrrev_b32_e32 v14, v13, v9
	v_lshlrev_b32_e32 v13, v13, v14
	v_mul_f16_sdwa v5, v77, v5 dst_sel:DWORD dst_unused:UNUSED_PAD src0_sel:WORD_1 src1_sel:DWORD
	v_cmp_ne_u32_e32 vcc, v13, v9
	v_fma_f16 v5, v77, v12, -v5
	v_cndmask_b32_e64 v9, 0, 1, vcc
	v_add_u32_e32 v13, 0xfffffc10, v10
	v_cvt_f32_f16_e32 v5, v5
	v_or_b32_e32 v9, v14, v9
	v_lshl_or_b32 v10, v13, 12, v1
	v_cmp_gt_i32_e32 vcc, 1, v13
	v_cndmask_b32_e32 v9, v10, v9, vcc
	v_and_b32_e32 v10, 7, v9
	v_cmp_lt_i32_e32 vcc, 5, v10
	v_cmp_eq_u32_e64 s[0:1], 3, v10
	v_lshrrev_b32_e32 v12, 2, v9
	v_cvt_f64_f32_e32 v[9:10], v5
	s_or_b64 vcc, s[0:1], vcc
	v_addc_co_u32_e32 v5, vcc, 0, v12, vcc
	v_mul_f64 v[9:10], v[9:10], s[2:3]
	v_cmp_gt_i32_e32 vcc, 31, v13
	v_cndmask_b32_e32 v5, v3, v5, vcc
	v_cmp_ne_u32_e32 vcc, 0, v1
	v_cndmask_b32_e64 v1, 0, 1, vcc
	v_lshl_or_b32 v1, v1, 9, v3
	v_cmp_eq_u32_e32 vcc, s8, v13
	v_cndmask_b32_e32 v1, v5, v1, vcc
	v_lshrrev_b32_e32 v5, 16, v11
	v_and_or_b32 v1, v5, s9, v1
	v_and_or_b32 v5, v10, s6, v9
	v_cmp_ne_u32_e32 vcc, 0, v5
	v_cndmask_b32_e64 v5, 0, 1, vcc
	v_lshrrev_b32_e32 v9, 8, v10
	v_bfe_u32 v11, v10, 20, 11
	v_and_or_b32 v5, v9, s7, v5
	v_sub_u32_e32 v12, 0x3f1, v11
	v_or_b32_e32 v9, 0x1000, v5
	v_med3_i32 v12, v12, 0, 13
	v_lshrrev_b32_e32 v13, v12, v9
	v_lshlrev_b32_e32 v12, v12, v13
	v_cmp_ne_u32_e32 vcc, v12, v9
	v_cndmask_b32_e64 v9, 0, 1, vcc
	v_or_b32_e32 v9, v13, v9
	v_add_u32_e32 v13, 0xfffffc10, v11
	v_lshl_or_b32 v11, v13, 12, v5
	v_cmp_gt_i32_e32 vcc, 1, v13
	v_cndmask_b32_e32 v9, v11, v9, vcc
	v_and_b32_e32 v11, 7, v9
	v_cmp_lt_i32_e32 vcc, 5, v11
	v_cmp_eq_u32_e64 s[0:1], 3, v11
	ds_read2_b32 v[11:12], v78 offset0:154 offset1:231
	v_lshrrev_b32_e32 v9, 2, v9
	s_or_b64 vcc, s[0:1], vcc
	v_addc_co_u32_e32 v9, vcc, 0, v9, vcc
	s_waitcnt lgkmcnt(0)
	v_lshrrev_b32_e32 v15, 16, v11
	v_mul_f16_sdwa v14, v76, v15 dst_sel:DWORD dst_unused:UNUSED_PAD src0_sel:WORD_1 src1_sel:DWORD
	v_fma_f16 v14, v76, v11, v14
	v_cvt_f32_f16_e32 v14, v14
	v_cmp_gt_i32_e32 vcc, 31, v13
	v_cndmask_b32_e32 v9, v3, v9, vcc
	v_cmp_ne_u32_e32 vcc, 0, v5
	v_cndmask_b32_e64 v5, 0, 1, vcc
	v_cmp_eq_u32_e32 vcc, s8, v13
	v_cvt_f64_f32_e32 v[13:14], v14
	v_lshl_or_b32 v5, v5, 9, v3
	v_cndmask_b32_e32 v5, v9, v5, vcc
	v_lshrrev_b32_e32 v9, 16, v10
	v_and_or_b32 v5, v9, s9, v5
	v_mul_f64 v[9:10], v[13:14], s[2:3]
	v_and_b32_e32 v1, 0xffff, v1
	v_lshl_or_b32 v1, v5, 16, v1
	v_mov_b32_e32 v5, s10
	v_add_co_u32_e32 v7, vcc, s11, v7
	v_addc_co_u32_e32 v8, vcc, v8, v5, vcc
	global_store_dword v[7:8], v1, off
	v_and_or_b32 v1, v10, s6, v9
	v_cmp_ne_u32_e32 vcc, 0, v1
	v_cndmask_b32_e64 v1, 0, 1, vcc
	v_lshrrev_b32_e32 v5, 8, v10
	v_bfe_u32 v9, v10, 20, 11
	v_and_or_b32 v1, v5, s7, v1
	v_sub_u32_e32 v13, 0x3f1, v9
	v_or_b32_e32 v5, 0x1000, v1
	v_med3_i32 v13, v13, 0, 13
	v_lshrrev_b32_e32 v14, v13, v5
	v_lshlrev_b32_e32 v13, v13, v14
	v_mul_f16_sdwa v11, v76, v11 dst_sel:DWORD dst_unused:UNUSED_PAD src0_sel:WORD_1 src1_sel:DWORD
	v_cmp_ne_u32_e32 vcc, v13, v5
	v_fma_f16 v11, v76, v15, -v11
	v_cndmask_b32_e64 v5, 0, 1, vcc
	v_add_u32_e32 v9, 0xfffffc10, v9
	v_cvt_f32_f16_e32 v11, v11
	v_or_b32_e32 v5, v14, v5
	v_lshl_or_b32 v13, v9, 12, v1
	v_cmp_gt_i32_e32 vcc, 1, v9
	v_cndmask_b32_e32 v5, v13, v5, vcc
	v_and_b32_e32 v13, 7, v5
	v_cmp_lt_i32_e32 vcc, 5, v13
	v_cmp_eq_u32_e64 s[0:1], 3, v13
	v_cvt_f64_f32_e32 v[13:14], v11
	v_lshrrev_b32_e32 v5, 2, v5
	s_or_b64 vcc, s[0:1], vcc
	v_addc_co_u32_e32 v5, vcc, 0, v5, vcc
	v_mul_f64 v[13:14], v[13:14], s[2:3]
	v_cmp_gt_i32_e32 vcc, 31, v9
	v_cndmask_b32_e32 v5, v3, v5, vcc
	v_cmp_ne_u32_e32 vcc, 0, v1
	v_cndmask_b32_e64 v1, 0, 1, vcc
	v_lshl_or_b32 v1, v1, 9, v3
	v_cmp_eq_u32_e32 vcc, s8, v9
	v_cndmask_b32_e32 v1, v5, v1, vcc
	v_lshrrev_b32_e32 v5, 16, v10
	v_and_or_b32 v1, v5, s9, v1
	v_and_or_b32 v5, v14, s6, v13
	v_cmp_ne_u32_e32 vcc, 0, v5
	v_cndmask_b32_e64 v5, 0, 1, vcc
	v_lshrrev_b32_e32 v9, 8, v14
	v_bfe_u32 v10, v14, 20, 11
	v_and_or_b32 v5, v9, s7, v5
	v_sub_u32_e32 v11, 0x3f1, v10
	v_or_b32_e32 v9, 0x1000, v5
	v_med3_i32 v11, v11, 0, 13
	v_lshrrev_b32_e32 v13, v11, v9
	v_lshlrev_b32_e32 v11, v11, v13
	v_cmp_ne_u32_e32 vcc, v11, v9
	v_cndmask_b32_e64 v9, 0, 1, vcc
	v_add_u32_e32 v10, 0xfffffc10, v10
	v_or_b32_e32 v9, v13, v9
	v_lshl_or_b32 v11, v10, 12, v5
	v_cmp_gt_i32_e32 vcc, 1, v10
	v_cndmask_b32_e32 v9, v11, v9, vcc
	v_and_b32_e32 v11, 7, v9
	v_cmp_lt_i32_e32 vcc, 5, v11
	v_cmp_eq_u32_e64 s[0:1], 3, v11
	v_lshrrev_b32_e32 v11, 16, v6
	v_lshrrev_b32_e32 v9, 2, v9
	s_or_b64 vcc, s[0:1], vcc
	v_mul_f16_sdwa v13, v75, v11 dst_sel:DWORD dst_unused:UNUSED_PAD src0_sel:WORD_1 src1_sel:DWORD
	v_addc_co_u32_e32 v9, vcc, 0, v9, vcc
	v_fma_f16 v13, v75, v6, v13
	v_cmp_gt_i32_e32 vcc, 31, v10
	v_cvt_f32_f16_e32 v13, v13
	v_cndmask_b32_e32 v9, v3, v9, vcc
	v_cmp_ne_u32_e32 vcc, 0, v5
	v_cndmask_b32_e64 v5, 0, 1, vcc
	v_lshl_or_b32 v5, v5, 9, v3
	v_cmp_eq_u32_e32 vcc, s8, v10
	v_cndmask_b32_e32 v5, v9, v5, vcc
	v_cvt_f64_f32_e32 v[9:10], v13
	v_lshrrev_b32_e32 v13, 16, v14
	v_and_or_b32 v5, v13, s9, v5
	v_and_b32_e32 v1, 0xffff, v1
	v_mul_f64 v[9:10], v[9:10], s[2:3]
	v_lshl_or_b32 v1, v5, 16, v1
	v_mov_b32_e32 v5, s5
	v_add_co_u32_e32 v7, vcc, s4, v7
	v_addc_co_u32_e32 v8, vcc, v8, v5, vcc
	global_store_dword v[7:8], v1, off
	v_and_or_b32 v1, v10, s6, v9
	v_cmp_ne_u32_e32 vcc, 0, v1
	v_cndmask_b32_e64 v1, 0, 1, vcc
	v_lshrrev_b32_e32 v5, 8, v10
	v_bfe_u32 v9, v10, 20, 11
	v_and_or_b32 v1, v5, s7, v1
	v_sub_u32_e32 v13, 0x3f1, v9
	v_or_b32_e32 v5, 0x1000, v1
	v_med3_i32 v13, v13, 0, 13
	v_lshrrev_b32_e32 v14, v13, v5
	v_mul_f16_sdwa v6, v75, v6 dst_sel:DWORD dst_unused:UNUSED_PAD src0_sel:WORD_1 src1_sel:DWORD
	v_lshlrev_b32_e32 v13, v13, v14
	v_fma_f16 v6, v75, v11, -v6
	v_cmp_ne_u32_e32 vcc, v13, v5
	v_cvt_f32_f16_e32 v6, v6
	v_cndmask_b32_e64 v5, 0, 1, vcc
	v_add_u32_e32 v9, 0xfffffc10, v9
	v_or_b32_e32 v5, v14, v5
	v_lshl_or_b32 v13, v9, 12, v1
	v_cmp_gt_i32_e32 vcc, 1, v9
	v_cndmask_b32_e32 v5, v13, v5, vcc
	v_and_b32_e32 v13, 7, v5
	v_lshrrev_b32_e32 v11, 2, v5
	v_cvt_f64_f32_e32 v[5:6], v6
	v_cmp_lt_i32_e32 vcc, 5, v13
	v_cmp_eq_u32_e64 s[0:1], 3, v13
	s_or_b64 vcc, s[0:1], vcc
	v_mul_f64 v[5:6], v[5:6], s[2:3]
	v_addc_co_u32_e32 v11, vcc, 0, v11, vcc
	v_cmp_gt_i32_e32 vcc, 31, v9
	v_cndmask_b32_e32 v11, v3, v11, vcc
	v_cmp_ne_u32_e32 vcc, 0, v1
	v_cndmask_b32_e64 v1, 0, 1, vcc
	v_lshl_or_b32 v1, v1, 9, v3
	v_cmp_eq_u32_e32 vcc, s8, v9
	v_and_or_b32 v5, v6, s6, v5
	v_cndmask_b32_e32 v1, v11, v1, vcc
	v_lshrrev_b32_e32 v9, 16, v10
	v_cmp_ne_u32_e32 vcc, 0, v5
	v_and_or_b32 v1, v9, s9, v1
	v_cndmask_b32_e64 v5, 0, 1, vcc
	v_lshrrev_b32_e32 v9, 8, v6
	v_bfe_u32 v10, v6, 20, 11
	v_and_or_b32 v5, v9, s7, v5
	v_sub_u32_e32 v11, 0x3f1, v10
	v_or_b32_e32 v9, 0x1000, v5
	v_med3_i32 v11, v11, 0, 13
	v_lshrrev_b32_e32 v13, v11, v9
	v_lshlrev_b32_e32 v11, v11, v13
	v_cmp_ne_u32_e32 vcc, v11, v9
	v_cndmask_b32_e64 v9, 0, 1, vcc
	v_add_u32_e32 v10, 0xfffffc10, v10
	v_or_b32_e32 v9, v13, v9
	v_lshl_or_b32 v11, v10, 12, v5
	v_cmp_gt_i32_e32 vcc, 1, v10
	v_cndmask_b32_e32 v9, v11, v9, vcc
	v_and_b32_e32 v11, 7, v9
	v_cmp_lt_i32_e32 vcc, 5, v11
	v_cmp_eq_u32_e64 s[0:1], 3, v11
	v_lshrrev_b32_e32 v11, 16, v12
	v_lshrrev_b32_e32 v9, 2, v9
	s_or_b64 vcc, s[0:1], vcc
	v_mul_f16_sdwa v13, v73, v11 dst_sel:DWORD dst_unused:UNUSED_PAD src0_sel:WORD_1 src1_sel:DWORD
	v_addc_co_u32_e32 v9, vcc, 0, v9, vcc
	v_fma_f16 v13, v73, v12, v13
	v_cmp_gt_i32_e32 vcc, 31, v10
	v_cvt_f32_f16_e32 v13, v13
	v_cndmask_b32_e32 v9, v3, v9, vcc
	v_cmp_ne_u32_e32 vcc, 0, v5
	v_cndmask_b32_e64 v5, 0, 1, vcc
	v_lshl_or_b32 v5, v5, 9, v3
	v_cmp_eq_u32_e32 vcc, s8, v10
	v_cndmask_b32_e32 v5, v9, v5, vcc
	v_cvt_f64_f32_e32 v[9:10], v13
	v_lshrrev_b32_e32 v6, 16, v6
	v_and_or_b32 v13, v6, s9, v5
	v_and_b32_e32 v1, 0xffff, v1
	v_mul_f64 v[5:6], v[9:10], s[2:3]
	v_mov_b32_e32 v9, s10
	v_add_co_u32_e32 v7, vcc, s11, v7
	v_lshl_or_b32 v1, v13, 16, v1
	v_addc_co_u32_e32 v8, vcc, v8, v9, vcc
	global_store_dword v[7:8], v1, off
	v_and_or_b32 v1, v6, s6, v5
	v_cmp_ne_u32_e32 vcc, 0, v1
	v_cndmask_b32_e64 v1, 0, 1, vcc
	v_lshrrev_b32_e32 v5, 8, v6
	v_bfe_u32 v9, v6, 20, 11
	v_and_or_b32 v1, v5, s7, v1
	v_sub_u32_e32 v10, 0x3f1, v9
	v_or_b32_e32 v5, 0x1000, v1
	v_med3_i32 v10, v10, 0, 13
	v_lshrrev_b32_e32 v13, v10, v5
	v_lshlrev_b32_e32 v10, v10, v13
	v_cmp_ne_u32_e32 vcc, v10, v5
	v_mul_f16_sdwa v10, v73, v12 dst_sel:DWORD dst_unused:UNUSED_PAD src0_sel:WORD_1 src1_sel:DWORD
	v_cndmask_b32_e64 v5, 0, 1, vcc
	v_fma_f16 v10, v73, v11, -v10
	v_or_b32_e32 v5, v13, v5
	v_add_u32_e32 v13, 0xfffffc10, v9
	v_cvt_f32_f16_e32 v10, v10
	v_lshl_or_b32 v9, v13, 12, v1
	v_cmp_gt_i32_e32 vcc, 1, v13
	v_cndmask_b32_e32 v5, v9, v5, vcc
	v_and_b32_e32 v9, 7, v5
	v_cmp_lt_i32_e32 vcc, 5, v9
	v_cmp_eq_u32_e64 s[0:1], 3, v9
	v_cvt_f64_f32_e32 v[9:10], v10
	v_lshrrev_b32_e32 v5, 2, v5
	s_or_b64 vcc, s[0:1], vcc
	v_addc_co_u32_e32 v5, vcc, 0, v5, vcc
	v_mul_f64 v[9:10], v[9:10], s[2:3]
	v_cmp_gt_i32_e32 vcc, 31, v13
	v_cndmask_b32_e32 v5, v3, v5, vcc
	v_cmp_ne_u32_e32 vcc, 0, v1
	v_cndmask_b32_e64 v1, 0, 1, vcc
	v_lshl_or_b32 v1, v1, 9, v3
	v_cmp_eq_u32_e32 vcc, s8, v13
	v_cndmask_b32_e32 v1, v5, v1, vcc
	v_lshrrev_b32_e32 v5, 16, v6
	v_and_or_b32 v1, v5, s9, v1
	v_and_or_b32 v5, v10, s6, v9
	v_cmp_ne_u32_e32 vcc, 0, v5
	v_cndmask_b32_e64 v5, 0, 1, vcc
	v_lshrrev_b32_e32 v6, 8, v10
	v_and_or_b32 v9, v6, s7, v5
	v_bfe_u32 v6, v10, 20, 11
	v_sub_u32_e32 v11, 0x3f1, v6
	v_or_b32_e32 v5, 0x1000, v9
	v_med3_i32 v11, v11, 0, 13
	v_lshrrev_b32_e32 v12, v11, v5
	v_lshlrev_b32_e32 v11, v11, v12
	v_cmp_ne_u32_e32 vcc, v11, v5
	v_cndmask_b32_e64 v5, 0, 1, vcc
	v_add_u32_e32 v11, 0xfffffc10, v6
	v_or_b32_e32 v5, v12, v5
	v_lshl_or_b32 v6, v11, 12, v9
	v_cmp_gt_i32_e32 vcc, 1, v11
	v_cndmask_b32_e32 v5, v6, v5, vcc
	v_and_b32_e32 v6, 7, v5
	v_cmp_lt_i32_e32 vcc, 5, v6
	v_cmp_eq_u32_e64 s[0:1], 3, v6
	v_lshrrev_b32_e32 v5, 2, v5
	s_or_b64 vcc, s[0:1], vcc
	v_addc_co_u32_e32 v12, vcc, 0, v5, vcc
	ds_read2_b32 v[5:6], v2 offset0:2 offset1:79
	v_cmp_gt_i32_e32 vcc, 31, v11
	v_cndmask_b32_e32 v12, v3, v12, vcc
	v_cmp_ne_u32_e32 vcc, 0, v9
	v_cndmask_b32_e64 v9, 0, 1, vcc
	s_waitcnt lgkmcnt(0)
	v_lshrrev_b32_e32 v13, 16, v5
	v_mul_f16_sdwa v14, v74, v13 dst_sel:DWORD dst_unused:UNUSED_PAD src0_sel:WORD_1 src1_sel:DWORD
	v_fma_f16 v14, v74, v5, v14
	v_cvt_f32_f16_e32 v14, v14
	v_lshl_or_b32 v9, v9, 9, v3
	v_cmp_eq_u32_e32 vcc, s8, v11
	v_cndmask_b32_e32 v9, v12, v9, vcc
	v_cvt_f64_f32_e32 v[11:12], v14
	v_lshrrev_b32_e32 v10, 16, v10
	v_and_or_b32 v14, v10, s9, v9
	v_and_b32_e32 v1, 0xffff, v1
	v_mul_f64 v[9:10], v[11:12], s[2:3]
	v_mov_b32_e32 v11, s5
	v_add_co_u32_e32 v7, vcc, s4, v7
	v_lshl_or_b32 v1, v14, 16, v1
	v_addc_co_u32_e32 v8, vcc, v8, v11, vcc
	global_store_dword v[7:8], v1, off
	v_and_or_b32 v1, v10, s6, v9
	v_cmp_ne_u32_e32 vcc, 0, v1
	v_cndmask_b32_e64 v1, 0, 1, vcc
	v_lshrrev_b32_e32 v9, 8, v10
	v_bfe_u32 v11, v10, 20, 11
	v_and_or_b32 v1, v9, s7, v1
	v_sub_u32_e32 v12, 0x3f1, v11
	v_or_b32_e32 v9, 0x1000, v1
	v_med3_i32 v12, v12, 0, 13
	v_lshrrev_b32_e32 v14, v12, v9
	v_lshlrev_b32_e32 v12, v12, v14
	v_cmp_ne_u32_e32 vcc, v12, v9
	v_mul_f16_sdwa v5, v74, v5 dst_sel:DWORD dst_unused:UNUSED_PAD src0_sel:WORD_1 src1_sel:DWORD
	v_cndmask_b32_e64 v9, 0, 1, vcc
	v_fma_f16 v5, v74, v13, -v5
	v_or_b32_e32 v9, v14, v9
	v_add_u32_e32 v14, 0xfffffc10, v11
	v_cvt_f32_f16_e32 v5, v5
	v_lshl_or_b32 v11, v14, 12, v1
	v_cmp_gt_i32_e32 vcc, 1, v14
	v_cndmask_b32_e32 v9, v11, v9, vcc
	v_and_b32_e32 v11, 7, v9
	v_cmp_lt_i32_e32 vcc, 5, v11
	v_cmp_eq_u32_e64 s[0:1], 3, v11
	v_cvt_f64_f32_e32 v[11:12], v5
	v_lshrrev_b32_e32 v9, 2, v9
	s_or_b64 vcc, s[0:1], vcc
	v_addc_co_u32_e32 v5, vcc, 0, v9, vcc
	v_mul_f64 v[11:12], v[11:12], s[2:3]
	v_cmp_gt_i32_e32 vcc, 31, v14
	v_cndmask_b32_e32 v5, v3, v5, vcc
	v_cmp_ne_u32_e32 vcc, 0, v1
	v_cndmask_b32_e64 v1, 0, 1, vcc
	v_lshl_or_b32 v1, v1, 9, v3
	v_cmp_eq_u32_e32 vcc, s8, v14
	v_cndmask_b32_e32 v1, v5, v1, vcc
	v_lshrrev_b32_e32 v5, 16, v10
	v_and_or_b32 v1, v5, s9, v1
	v_and_or_b32 v5, v12, s6, v11
	v_cmp_ne_u32_e32 vcc, 0, v5
	v_cndmask_b32_e64 v5, 0, 1, vcc
	v_lshrrev_b32_e32 v9, 8, v12
	v_bfe_u32 v10, v12, 20, 11
	v_and_or_b32 v9, v9, s7, v5
	v_sub_u32_e32 v11, 0x3f1, v10
	v_or_b32_e32 v5, 0x1000, v9
	v_med3_i32 v11, v11, 0, 13
	v_lshrrev_b32_e32 v13, v11, v5
	v_lshlrev_b32_e32 v11, v11, v13
	v_cmp_ne_u32_e32 vcc, v11, v5
	v_cndmask_b32_e64 v5, 0, 1, vcc
	v_add_u32_e32 v10, 0xfffffc10, v10
	v_or_b32_e32 v5, v13, v5
	v_lshl_or_b32 v11, v10, 12, v9
	v_cmp_gt_i32_e32 vcc, 1, v10
	v_cndmask_b32_e32 v5, v11, v5, vcc
	v_and_b32_e32 v11, 7, v5
	v_cmp_lt_i32_e32 vcc, 5, v11
	v_cmp_eq_u32_e64 s[0:1], 3, v11
	v_lshrrev_b32_e32 v5, 2, v5
	s_or_b64 vcc, s[0:1], vcc
	v_addc_co_u32_e32 v11, vcc, 0, v5, vcc
	ds_read2_b32 v[4:5], v4 offset0:52 offset1:129
	v_cmp_gt_i32_e32 vcc, 31, v10
	v_cndmask_b32_e32 v11, v3, v11, vcc
	v_cmp_ne_u32_e32 vcc, 0, v9
	v_cndmask_b32_e64 v9, 0, 1, vcc
	s_waitcnt lgkmcnt(0)
	v_lshrrev_b32_e32 v13, 16, v4
	v_mul_f16_sdwa v14, v72, v13 dst_sel:DWORD dst_unused:UNUSED_PAD src0_sel:WORD_1 src1_sel:DWORD
	v_fma_f16 v14, v72, v4, v14
	v_cvt_f32_f16_e32 v14, v14
	v_lshl_or_b32 v9, v9, 9, v3
	v_cmp_eq_u32_e32 vcc, s8, v10
	v_cndmask_b32_e32 v11, v11, v9, vcc
	v_cvt_f64_f32_e32 v[9:10], v14
	v_lshrrev_b32_e32 v12, 16, v12
	v_and_or_b32 v11, v12, s9, v11
	v_and_b32_e32 v1, 0xffff, v1
	v_mul_f64 v[9:10], v[9:10], s[2:3]
	v_lshl_or_b32 v1, v11, 16, v1
	v_mov_b32_e32 v11, s10
	v_add_co_u32_e32 v7, vcc, s11, v7
	v_addc_co_u32_e32 v8, vcc, v8, v11, vcc
	global_store_dword v[7:8], v1, off
	v_and_or_b32 v1, v10, s6, v9
	v_cmp_ne_u32_e32 vcc, 0, v1
	v_cndmask_b32_e64 v1, 0, 1, vcc
	v_lshrrev_b32_e32 v9, 8, v10
	v_bfe_u32 v11, v10, 20, 11
	v_and_or_b32 v1, v9, s7, v1
	v_sub_u32_e32 v12, 0x3f1, v11
	v_or_b32_e32 v9, 0x1000, v1
	v_med3_i32 v12, v12, 0, 13
	v_lshrrev_b32_e32 v14, v12, v9
	v_lshlrev_b32_e32 v12, v12, v14
	v_cmp_ne_u32_e32 vcc, v12, v9
	v_mul_f16_sdwa v4, v72, v4 dst_sel:DWORD dst_unused:UNUSED_PAD src0_sel:WORD_1 src1_sel:DWORD
	v_cndmask_b32_e64 v9, 0, 1, vcc
	v_fma_f16 v4, v72, v13, -v4
	v_or_b32_e32 v9, v14, v9
	v_add_u32_e32 v14, 0xfffffc10, v11
	v_cvt_f32_f16_e32 v4, v4
	v_lshl_or_b32 v11, v14, 12, v1
	v_cmp_gt_i32_e32 vcc, 1, v14
	v_cndmask_b32_e32 v9, v11, v9, vcc
	v_and_b32_e32 v11, 7, v9
	v_cmp_lt_i32_e32 vcc, 5, v11
	v_cmp_eq_u32_e64 s[0:1], 3, v11
	v_cvt_f64_f32_e32 v[11:12], v4
	v_lshrrev_b32_e32 v9, 2, v9
	s_or_b64 vcc, s[0:1], vcc
	v_addc_co_u32_e32 v4, vcc, 0, v9, vcc
	v_mul_f64 v[11:12], v[11:12], s[2:3]
	v_cmp_gt_i32_e32 vcc, 31, v14
	v_cndmask_b32_e32 v4, v3, v4, vcc
	v_cmp_ne_u32_e32 vcc, 0, v1
	v_cndmask_b32_e64 v1, 0, 1, vcc
	v_lshl_or_b32 v1, v1, 9, v3
	v_cmp_eq_u32_e32 vcc, s8, v14
	v_cndmask_b32_e32 v1, v4, v1, vcc
	v_lshrrev_b32_e32 v4, 16, v10
	v_and_or_b32 v1, v4, s9, v1
	v_and_or_b32 v4, v12, s6, v11
	v_cmp_ne_u32_e32 vcc, 0, v4
	v_cndmask_b32_e64 v4, 0, 1, vcc
	v_lshrrev_b32_e32 v9, 8, v12
	v_bfe_u32 v10, v12, 20, 11
	v_and_or_b32 v4, v9, s7, v4
	v_sub_u32_e32 v11, 0x3f1, v10
	v_or_b32_e32 v9, 0x1000, v4
	v_med3_i32 v11, v11, 0, 13
	v_lshrrev_b32_e32 v13, v11, v9
	v_lshlrev_b32_e32 v11, v11, v13
	v_cmp_ne_u32_e32 vcc, v11, v9
	v_cndmask_b32_e64 v9, 0, 1, vcc
	v_add_u32_e32 v10, 0xfffffc10, v10
	v_or_b32_e32 v9, v13, v9
	v_lshl_or_b32 v11, v10, 12, v4
	v_cmp_gt_i32_e32 vcc, 1, v10
	v_cndmask_b32_e32 v9, v11, v9, vcc
	v_and_b32_e32 v11, 7, v9
	v_cmp_lt_i32_e32 vcc, 5, v11
	v_cmp_eq_u32_e64 s[0:1], 3, v11
	v_lshrrev_b32_e32 v11, 16, v6
	v_lshrrev_b32_e32 v9, 2, v9
	s_or_b64 vcc, s[0:1], vcc
	v_mul_f16_sdwa v13, v71, v11 dst_sel:DWORD dst_unused:UNUSED_PAD src0_sel:WORD_1 src1_sel:DWORD
	v_addc_co_u32_e32 v9, vcc, 0, v9, vcc
	v_fma_f16 v13, v71, v6, v13
	v_cmp_gt_i32_e32 vcc, 31, v10
	v_cvt_f32_f16_e32 v13, v13
	v_cndmask_b32_e32 v9, v3, v9, vcc
	v_cmp_ne_u32_e32 vcc, 0, v4
	v_cndmask_b32_e64 v4, 0, 1, vcc
	v_lshl_or_b32 v4, v4, 9, v3
	v_cmp_eq_u32_e32 vcc, s8, v10
	v_cndmask_b32_e32 v4, v9, v4, vcc
	v_cvt_f64_f32_e32 v[9:10], v13
	v_lshrrev_b32_e32 v12, 16, v12
	v_and_or_b32 v4, v12, s9, v4
	v_and_b32_e32 v1, 0xffff, v1
	v_mul_f64 v[9:10], v[9:10], s[2:3]
	v_lshl_or_b32 v1, v4, 16, v1
	v_mov_b32_e32 v4, s5
	v_add_co_u32_e32 v7, vcc, s4, v7
	v_addc_co_u32_e32 v8, vcc, v8, v4, vcc
	global_store_dword v[7:8], v1, off
	v_and_or_b32 v1, v10, s6, v9
	v_cmp_ne_u32_e32 vcc, 0, v1
	v_cndmask_b32_e64 v1, 0, 1, vcc
	v_lshrrev_b32_e32 v4, 8, v10
	v_bfe_u32 v9, v10, 20, 11
	v_and_or_b32 v1, v4, s7, v1
	v_sub_u32_e32 v12, 0x3f1, v9
	v_or_b32_e32 v4, 0x1000, v1
	v_med3_i32 v12, v12, 0, 13
	v_lshrrev_b32_e32 v13, v12, v4
	v_lshlrev_b32_e32 v12, v12, v13
	v_mul_f16_sdwa v6, v71, v6 dst_sel:DWORD dst_unused:UNUSED_PAD src0_sel:WORD_1 src1_sel:DWORD
	v_cmp_ne_u32_e32 vcc, v12, v4
	v_fma_f16 v6, v71, v11, -v6
	v_cndmask_b32_e64 v4, 0, 1, vcc
	v_add_u32_e32 v9, 0xfffffc10, v9
	v_cvt_f32_f16_e32 v6, v6
	v_or_b32_e32 v4, v13, v4
	v_lshl_or_b32 v12, v9, 12, v1
	v_cmp_gt_i32_e32 vcc, 1, v9
	v_cndmask_b32_e32 v4, v12, v4, vcc
	v_and_b32_e32 v12, 7, v4
	v_cmp_lt_i32_e32 vcc, 5, v12
	v_cmp_eq_u32_e64 s[0:1], 3, v12
	v_cvt_f64_f32_e32 v[11:12], v6
	v_lshrrev_b32_e32 v4, 2, v4
	s_or_b64 vcc, s[0:1], vcc
	v_addc_co_u32_e32 v4, vcc, 0, v4, vcc
	v_mul_f64 v[11:12], v[11:12], s[2:3]
	v_cmp_gt_i32_e32 vcc, 31, v9
	v_cndmask_b32_e32 v4, v3, v4, vcc
	v_cmp_ne_u32_e32 vcc, 0, v1
	v_cndmask_b32_e64 v1, 0, 1, vcc
	v_lshl_or_b32 v1, v1, 9, v3
	v_cmp_eq_u32_e32 vcc, s8, v9
	v_cndmask_b32_e32 v1, v4, v1, vcc
	v_lshrrev_b32_e32 v4, 16, v10
	v_and_or_b32 v1, v4, s9, v1
	v_and_or_b32 v4, v12, s6, v11
	v_cmp_ne_u32_e32 vcc, 0, v4
	v_cndmask_b32_e64 v4, 0, 1, vcc
	v_lshrrev_b32_e32 v6, 8, v12
	v_bfe_u32 v9, v12, 20, 11
	v_and_or_b32 v4, v6, s7, v4
	v_sub_u32_e32 v10, 0x3f1, v9
	v_or_b32_e32 v6, 0x1000, v4
	v_med3_i32 v10, v10, 0, 13
	v_lshrrev_b32_e32 v11, v10, v6
	v_lshlrev_b32_e32 v10, v10, v11
	v_cmp_ne_u32_e32 vcc, v10, v6
	v_cndmask_b32_e64 v6, 0, 1, vcc
	v_add_u32_e32 v9, 0xfffffc10, v9
	v_or_b32_e32 v6, v11, v6
	v_lshl_or_b32 v10, v9, 12, v4
	v_cmp_gt_i32_e32 vcc, 1, v9
	v_cndmask_b32_e32 v6, v10, v6, vcc
	v_and_b32_e32 v10, 7, v6
	v_lshrrev_b32_e32 v11, 16, v5
	v_cmp_lt_i32_e32 vcc, 5, v10
	v_cmp_eq_u32_e64 s[0:1], 3, v10
	v_mul_f16_sdwa v10, v70, v11 dst_sel:DWORD dst_unused:UNUSED_PAD src0_sel:WORD_1 src1_sel:DWORD
	v_fma_f16 v10, v70, v5, v10
	v_lshrrev_b32_e32 v6, 2, v6
	s_or_b64 vcc, s[0:1], vcc
	v_cvt_f32_f16_e32 v10, v10
	v_addc_co_u32_e32 v6, vcc, 0, v6, vcc
	v_cmp_gt_i32_e32 vcc, 31, v9
	v_cndmask_b32_e32 v6, v3, v6, vcc
	v_cmp_ne_u32_e32 vcc, 0, v4
	v_cndmask_b32_e64 v4, 0, 1, vcc
	v_cmp_eq_u32_e32 vcc, s8, v9
	v_cvt_f64_f32_e32 v[9:10], v10
	v_lshl_or_b32 v4, v4, 9, v3
	v_cndmask_b32_e32 v4, v6, v4, vcc
	v_lshrrev_b32_e32 v6, 16, v12
	v_mul_f64 v[9:10], v[9:10], s[2:3]
	v_and_or_b32 v4, v6, s9, v4
	v_and_b32_e32 v1, 0xffff, v1
	v_lshl_or_b32 v1, v4, 16, v1
	v_mov_b32_e32 v4, s10
	v_add_co_u32_e32 v6, vcc, s11, v7
	v_addc_co_u32_e32 v7, vcc, v8, v4, vcc
	global_store_dword v[6:7], v1, off
	v_and_or_b32 v1, v10, s6, v9
	v_cmp_ne_u32_e32 vcc, 0, v1
	v_cndmask_b32_e64 v1, 0, 1, vcc
	v_lshrrev_b32_e32 v4, 8, v10
	v_bfe_u32 v8, v10, 20, 11
	v_and_or_b32 v1, v4, s7, v1
	v_sub_u32_e32 v9, 0x3f1, v8
	v_or_b32_e32 v4, 0x1000, v1
	v_med3_i32 v9, v9, 0, 13
	v_lshrrev_b32_e32 v12, v9, v4
	v_lshlrev_b32_e32 v9, v9, v12
	v_mul_f16_sdwa v5, v70, v5 dst_sel:DWORD dst_unused:UNUSED_PAD src0_sel:WORD_1 src1_sel:DWORD
	v_cmp_ne_u32_e32 vcc, v9, v4
	v_fma_f16 v5, v70, v11, -v5
	v_cndmask_b32_e64 v4, 0, 1, vcc
	v_add_u32_e32 v8, 0xfffffc10, v8
	v_cvt_f32_f16_e32 v5, v5
	v_or_b32_e32 v4, v12, v4
	v_lshl_or_b32 v9, v8, 12, v1
	v_cmp_gt_i32_e32 vcc, 1, v8
	v_cndmask_b32_e32 v4, v9, v4, vcc
	v_and_b32_e32 v9, 7, v4
	v_cmp_lt_i32_e32 vcc, 5, v9
	v_cmp_eq_u32_e64 s[0:1], 3, v9
	v_lshrrev_b32_e32 v9, 2, v4
	v_cvt_f64_f32_e32 v[4:5], v5
	s_or_b64 vcc, s[0:1], vcc
	v_addc_co_u32_e32 v9, vcc, 0, v9, vcc
	v_mul_f64 v[4:5], v[4:5], s[2:3]
	v_cmp_gt_i32_e32 vcc, 31, v8
	v_cndmask_b32_e32 v9, v3, v9, vcc
	v_cmp_ne_u32_e32 vcc, 0, v1
	v_cndmask_b32_e64 v1, 0, 1, vcc
	v_lshl_or_b32 v1, v1, 9, v3
	v_cmp_eq_u32_e32 vcc, s8, v8
	v_cndmask_b32_e32 v1, v9, v1, vcc
	v_lshrrev_b32_e32 v8, 16, v10
	v_and_or_b32 v10, v8, s9, v1
	v_and_or_b32 v1, v5, s6, v4
	v_cmp_ne_u32_e32 vcc, 0, v1
	v_cndmask_b32_e64 v1, 0, 1, vcc
	v_lshrrev_b32_e32 v4, 8, v5
	v_bfe_u32 v8, v5, 20, 11
	v_and_or_b32 v4, v4, s7, v1
	v_sub_u32_e32 v9, 0x3f1, v8
	v_or_b32_e32 v1, 0x1000, v4
	v_med3_i32 v9, v9, 0, 13
	v_lshrrev_b32_e32 v11, v9, v1
	v_lshlrev_b32_e32 v9, v9, v11
	v_cmp_ne_u32_e32 vcc, v9, v1
	v_cndmask_b32_e64 v1, 0, 1, vcc
	v_add_u32_e32 v8, 0xfffffc10, v8
	v_or_b32_e32 v1, v11, v1
	v_lshl_or_b32 v9, v8, 12, v4
	v_cmp_gt_i32_e32 vcc, 1, v8
	v_cndmask_b32_e32 v1, v9, v1, vcc
	v_and_b32_e32 v9, 7, v1
	v_cmp_lt_i32_e32 vcc, 5, v9
	v_cmp_eq_u32_e64 s[0:1], 3, v9
	v_lshrrev_b32_e32 v1, 2, v1
	s_or_b64 vcc, s[0:1], vcc
	v_addc_co_u32_e32 v9, vcc, 0, v1, vcc
	ds_read2_b32 v[1:2], v2 offset0:156 offset1:233
	v_cmp_gt_i32_e32 vcc, 31, v8
	v_cndmask_b32_e32 v9, v3, v9, vcc
	v_cmp_ne_u32_e32 vcc, 0, v4
	v_cndmask_b32_e64 v4, 0, 1, vcc
	s_waitcnt lgkmcnt(0)
	v_lshrrev_b32_e32 v11, 16, v1
	v_mul_f16_sdwa v12, v69, v11 dst_sel:DWORD dst_unused:UNUSED_PAD src0_sel:WORD_1 src1_sel:DWORD
	v_fma_f16 v12, v69, v1, v12
	v_cvt_f32_f16_e32 v12, v12
	v_lshl_or_b32 v4, v4, 9, v3
	v_cmp_eq_u32_e32 vcc, s8, v8
	v_cndmask_b32_e32 v4, v9, v4, vcc
	v_cvt_f64_f32_e32 v[8:9], v12
	v_lshrrev_b32_e32 v5, 16, v5
	v_and_or_b32 v12, v5, s9, v4
	v_add_co_u32_e32 v6, vcc, s4, v6
	v_mul_f64 v[4:5], v[8:9], s[2:3]
	v_mov_b32_e32 v9, s5
	v_and_b32_e32 v10, 0xffff, v10
	v_addc_co_u32_e32 v7, vcc, v7, v9, vcc
	v_lshl_or_b32 v8, v12, 16, v10
	global_store_dword v[6:7], v8, off
	v_mul_f16_sdwa v1, v69, v1 dst_sel:DWORD dst_unused:UNUSED_PAD src0_sel:WORD_1 src1_sel:DWORD
	v_and_or_b32 v4, v5, s6, v4
	v_cmp_ne_u32_e32 vcc, 0, v4
	v_cndmask_b32_e64 v4, 0, 1, vcc
	v_lshrrev_b32_e32 v8, 8, v5
	v_bfe_u32 v9, v5, 20, 11
	v_and_or_b32 v4, v8, s7, v4
	v_sub_u32_e32 v10, 0x3f1, v9
	v_or_b32_e32 v8, 0x1000, v4
	v_med3_i32 v10, v10, 0, 13
	v_lshrrev_b32_e32 v12, v10, v8
	v_lshlrev_b32_e32 v10, v10, v12
	v_cmp_ne_u32_e32 vcc, v10, v8
	v_fma_f16 v1, v69, v11, -v1
	v_cndmask_b32_e64 v8, 0, 1, vcc
	v_add_u32_e32 v10, 0xfffffc10, v9
	v_cvt_f32_f16_e32 v1, v1
	v_or_b32_e32 v8, v12, v8
	v_lshl_or_b32 v9, v10, 12, v4
	v_cmp_gt_i32_e32 vcc, 1, v10
	v_cndmask_b32_e32 v8, v9, v8, vcc
	v_and_b32_e32 v9, 7, v8
	v_cmp_lt_i32_e32 vcc, 5, v9
	v_cmp_eq_u32_e64 s[0:1], 3, v9
	v_lshrrev_b32_e32 v11, 2, v8
	v_cvt_f64_f32_e32 v[8:9], v1
	s_or_b64 vcc, s[0:1], vcc
	v_addc_co_u32_e32 v1, vcc, 0, v11, vcc
	v_mul_f64 v[8:9], v[8:9], s[2:3]
	v_cmp_gt_i32_e32 vcc, 31, v10
	v_cndmask_b32_e32 v1, v3, v1, vcc
	v_cmp_ne_u32_e32 vcc, 0, v4
	v_cndmask_b32_e64 v4, 0, 1, vcc
	v_lshl_or_b32 v4, v4, 9, v3
	v_cmp_eq_u32_e32 vcc, s8, v10
	v_cndmask_b32_e32 v1, v1, v4, vcc
	v_lshrrev_b32_e32 v4, 16, v5
	v_and_or_b32 v1, v4, s9, v1
	v_and_or_b32 v4, v9, s6, v8
	v_cmp_ne_u32_e32 vcc, 0, v4
	v_cndmask_b32_e64 v4, 0, 1, vcc
	v_lshrrev_b32_e32 v5, 8, v9
	v_bfe_u32 v8, v9, 20, 11
	v_and_or_b32 v4, v5, s7, v4
	v_sub_u32_e32 v10, 0x3f1, v8
	v_or_b32_e32 v5, 0x1000, v4
	v_med3_i32 v10, v10, 0, 13
	v_lshrrev_b32_e32 v11, v10, v5
	v_lshlrev_b32_e32 v10, v10, v11
	v_cmp_ne_u32_e32 vcc, v10, v5
	v_cndmask_b32_e64 v5, 0, 1, vcc
	v_add_u32_e32 v8, 0xfffffc10, v8
	v_or_b32_e32 v5, v11, v5
	v_lshl_or_b32 v10, v8, 12, v4
	v_cmp_gt_i32_e32 vcc, 1, v8
	v_cndmask_b32_e32 v5, v10, v5, vcc
	v_and_b32_e32 v10, 7, v5
	v_cmp_lt_i32_e32 vcc, 5, v10
	v_cmp_eq_u32_e64 s[0:1], 3, v10
	v_lshrrev_b32_e32 v10, 16, v0
	v_lshrrev_b32_e32 v5, 2, v5
	s_or_b64 vcc, s[0:1], vcc
	v_mul_f16_sdwa v11, v68, v10 dst_sel:DWORD dst_unused:UNUSED_PAD src0_sel:WORD_1 src1_sel:DWORD
	v_addc_co_u32_e32 v5, vcc, 0, v5, vcc
	v_fma_f16 v11, v68, v0, v11
	v_cmp_gt_i32_e32 vcc, 31, v8
	v_cvt_f32_f16_e32 v11, v11
	v_cndmask_b32_e32 v5, v3, v5, vcc
	v_cmp_ne_u32_e32 vcc, 0, v4
	v_cndmask_b32_e64 v4, 0, 1, vcc
	v_lshl_or_b32 v4, v4, 9, v3
	v_cmp_eq_u32_e32 vcc, s8, v8
	v_cndmask_b32_e32 v8, v5, v4, vcc
	v_cvt_f64_f32_e32 v[4:5], v11
	v_lshrrev_b32_e32 v9, 16, v9
	v_and_or_b32 v8, v9, s9, v8
	v_and_b32_e32 v1, 0xffff, v1
	v_mul_f64 v[4:5], v[4:5], s[2:3]
	v_lshl_or_b32 v1, v8, 16, v1
	v_mov_b32_e32 v8, s10
	v_add_co_u32_e32 v6, vcc, s11, v6
	v_addc_co_u32_e32 v7, vcc, v7, v8, vcc
	global_store_dword v[6:7], v1, off
	v_and_or_b32 v1, v5, s6, v4
	v_cmp_ne_u32_e32 vcc, 0, v1
	v_cndmask_b32_e64 v1, 0, 1, vcc
	v_lshrrev_b32_e32 v4, 8, v5
	v_bfe_u32 v8, v5, 20, 11
	v_and_or_b32 v4, v4, s7, v1
	v_sub_u32_e32 v9, 0x3f1, v8
	v_or_b32_e32 v1, 0x1000, v4
	v_med3_i32 v9, v9, 0, 13
	v_lshrrev_b32_e32 v11, v9, v1
	v_lshlrev_b32_e32 v9, v9, v11
	v_mul_f16_sdwa v0, v68, v0 dst_sel:DWORD dst_unused:UNUSED_PAD src0_sel:WORD_1 src1_sel:DWORD
	v_cmp_ne_u32_e32 vcc, v9, v1
	v_fma_f16 v0, v68, v10, -v0
	v_cndmask_b32_e64 v1, 0, 1, vcc
	v_add_u32_e32 v8, 0xfffffc10, v8
	v_cvt_f32_f16_e32 v0, v0
	v_or_b32_e32 v1, v11, v1
	v_lshl_or_b32 v9, v8, 12, v4
	v_cmp_gt_i32_e32 vcc, 1, v8
	v_cndmask_b32_e32 v1, v9, v1, vcc
	v_and_b32_e32 v9, 7, v1
	v_cmp_lt_i32_e32 vcc, 5, v9
	v_cmp_eq_u32_e64 s[0:1], 3, v9
	v_lshrrev_b32_e32 v9, 2, v1
	v_cvt_f64_f32_e32 v[0:1], v0
	s_or_b64 vcc, s[0:1], vcc
	v_addc_co_u32_e32 v9, vcc, 0, v9, vcc
	v_mul_f64 v[0:1], v[0:1], s[2:3]
	v_cmp_gt_i32_e32 vcc, 31, v8
	v_cndmask_b32_e32 v9, v3, v9, vcc
	v_cmp_ne_u32_e32 vcc, 0, v4
	v_cndmask_b32_e64 v4, 0, 1, vcc
	v_lshl_or_b32 v4, v4, 9, v3
	v_cmp_eq_u32_e32 vcc, s8, v8
	v_cndmask_b32_e32 v4, v9, v4, vcc
	v_and_or_b32 v0, v1, s6, v0
	v_lshrrev_b32_e32 v5, 16, v5
	v_cmp_ne_u32_e32 vcc, 0, v0
	v_and_or_b32 v8, v5, s9, v4
	v_cndmask_b32_e64 v0, 0, 1, vcc
	v_lshrrev_b32_e32 v4, 8, v1
	v_bfe_u32 v5, v1, 20, 11
	v_and_or_b32 v0, v4, s7, v0
	v_sub_u32_e32 v9, 0x3f1, v5
	v_or_b32_e32 v4, 0x1000, v0
	v_med3_i32 v9, v9, 0, 13
	v_lshrrev_b32_e32 v10, v9, v4
	v_lshlrev_b32_e32 v9, v9, v10
	v_cmp_ne_u32_e32 vcc, v9, v4
	v_cndmask_b32_e64 v4, 0, 1, vcc
	v_add_u32_e32 v5, 0xfffffc10, v5
	v_or_b32_e32 v4, v10, v4
	v_lshl_or_b32 v9, v5, 12, v0
	v_cmp_gt_i32_e32 vcc, 1, v5
	v_cndmask_b32_e32 v4, v9, v4, vcc
	v_and_b32_e32 v9, 7, v4
	v_cmp_lt_i32_e32 vcc, 5, v9
	v_cmp_eq_u32_e64 s[0:1], 3, v9
	v_lshrrev_b32_e32 v9, 16, v2
	v_lshrrev_b32_e32 v4, 2, v4
	s_or_b64 vcc, s[0:1], vcc
	v_mul_f16_sdwa v10, v67, v9 dst_sel:DWORD dst_unused:UNUSED_PAD src0_sel:WORD_1 src1_sel:DWORD
	v_addc_co_u32_e32 v4, vcc, 0, v4, vcc
	v_fma_f16 v10, v67, v2, v10
	v_cmp_gt_i32_e32 vcc, 31, v5
	v_cvt_f32_f16_e32 v10, v10
	v_cndmask_b32_e32 v4, v3, v4, vcc
	v_cmp_ne_u32_e32 vcc, 0, v0
	v_cndmask_b32_e64 v0, 0, 1, vcc
	v_lshl_or_b32 v0, v0, 9, v3
	v_cmp_eq_u32_e32 vcc, s8, v5
	v_cndmask_b32_e32 v0, v4, v0, vcc
	v_cvt_f64_f32_e32 v[4:5], v10
	v_lshrrev_b32_e32 v1, 16, v1
	v_and_or_b32 v10, v1, s9, v0
	v_and_b32_e32 v8, 0xffff, v8
	v_mul_f64 v[0:1], v[4:5], s[2:3]
	v_mov_b32_e32 v5, s5
	v_add_co_u32_e32 v4, vcc, s4, v6
	v_addc_co_u32_e32 v5, vcc, v7, v5, vcc
	v_lshl_or_b32 v8, v10, 16, v8
	global_store_dword v[4:5], v8, off
	v_and_or_b32 v0, v1, s6, v0
	v_cmp_ne_u32_e32 vcc, 0, v0
	v_cndmask_b32_e64 v0, 0, 1, vcc
	v_lshrrev_b32_e32 v6, 8, v1
	v_bfe_u32 v7, v1, 20, 11
	v_and_or_b32 v0, v6, s7, v0
	v_sub_u32_e32 v8, 0x3f1, v7
	v_or_b32_e32 v6, 0x1000, v0
	v_med3_i32 v8, v8, 0, 13
	v_lshrrev_b32_e32 v10, v8, v6
	v_lshlrev_b32_e32 v8, v8, v10
	v_mul_f16_sdwa v2, v67, v2 dst_sel:DWORD dst_unused:UNUSED_PAD src0_sel:WORD_1 src1_sel:DWORD
	v_cmp_ne_u32_e32 vcc, v8, v6
	v_fma_f16 v2, v67, v9, -v2
	v_cndmask_b32_e64 v6, 0, 1, vcc
	v_add_u32_e32 v8, 0xfffffc10, v7
	v_cvt_f32_f16_e32 v2, v2
	v_or_b32_e32 v6, v10, v6
	v_lshl_or_b32 v7, v8, 12, v0
	v_cmp_gt_i32_e32 vcc, 1, v8
	v_cndmask_b32_e32 v6, v7, v6, vcc
	v_and_b32_e32 v7, 7, v6
	v_cmp_lt_i32_e32 vcc, 5, v7
	v_cmp_eq_u32_e64 s[0:1], 3, v7
	v_lshrrev_b32_e32 v9, 2, v6
	v_cvt_f64_f32_e32 v[6:7], v2
	s_or_b64 vcc, s[0:1], vcc
	v_addc_co_u32_e32 v2, vcc, 0, v9, vcc
	v_mul_f64 v[6:7], v[6:7], s[2:3]
	v_cmp_gt_i32_e32 vcc, 31, v8
	v_cndmask_b32_e32 v2, v3, v2, vcc
	v_cmp_ne_u32_e32 vcc, 0, v0
	v_cndmask_b32_e64 v0, 0, 1, vcc
	v_lshl_or_b32 v0, v0, 9, v3
	v_cmp_eq_u32_e32 vcc, s8, v8
	v_cndmask_b32_e32 v0, v2, v0, vcc
	v_lshrrev_b32_e32 v1, 16, v1
	v_and_or_b32 v0, v1, s9, v0
	v_and_or_b32 v1, v7, s6, v6
	v_cmp_ne_u32_e32 vcc, 0, v1
	v_cndmask_b32_e64 v1, 0, 1, vcc
	v_lshrrev_b32_e32 v2, 8, v7
	v_bfe_u32 v6, v7, 20, 11
	v_and_or_b32 v1, v2, s7, v1
	v_sub_u32_e32 v8, 0x3f1, v6
	v_or_b32_e32 v2, 0x1000, v1
	v_med3_i32 v8, v8, 0, 13
	v_lshrrev_b32_e32 v9, v8, v2
	v_lshlrev_b32_e32 v8, v8, v9
	v_cmp_ne_u32_e32 vcc, v8, v2
	v_cndmask_b32_e64 v2, 0, 1, vcc
	v_add_u32_e32 v6, 0xfffffc10, v6
	v_or_b32_e32 v2, v9, v2
	v_lshl_or_b32 v8, v6, 12, v1
	v_cmp_gt_i32_e32 vcc, 1, v6
	v_cndmask_b32_e32 v2, v8, v2, vcc
	v_and_b32_e32 v8, 7, v2
	v_cmp_lt_i32_e32 vcc, 5, v8
	v_cmp_eq_u32_e64 s[0:1], 3, v8
	v_lshrrev_b32_e32 v2, 2, v2
	s_or_b64 vcc, s[0:1], vcc
	v_addc_co_u32_e32 v2, vcc, 0, v2, vcc
	v_cmp_gt_i32_e32 vcc, 31, v6
	v_cndmask_b32_e32 v2, v3, v2, vcc
	v_cmp_ne_u32_e32 vcc, 0, v1
	v_cndmask_b32_e64 v1, 0, 1, vcc
	v_lshl_or_b32 v1, v1, 9, v3
	v_cmp_eq_u32_e32 vcc, s8, v6
	v_cndmask_b32_e32 v1, v2, v1, vcc
	v_lshrrev_b32_e32 v2, 16, v7
	v_and_or_b32 v1, v2, s9, v1
	v_and_b32_e32 v0, 0xffff, v0
	v_lshl_or_b32 v2, v1, 16, v0
	v_mov_b32_e32 v1, s10
	v_add_co_u32_e32 v0, vcc, s11, v4
	v_addc_co_u32_e32 v1, vcc, v5, v1, vcc
	global_store_dword v[0:1], v2, off
.LBB0_10:
	s_endpgm
	.section	.rodata,"a",@progbits
	.p2align	6, 0x0
	.amdhsa_kernel bluestein_single_fwd_len1078_dim1_half_op_CI_CI
		.amdhsa_group_segment_fixed_size 12936
		.amdhsa_private_segment_fixed_size 0
		.amdhsa_kernarg_size 104
		.amdhsa_user_sgpr_count 6
		.amdhsa_user_sgpr_private_segment_buffer 1
		.amdhsa_user_sgpr_dispatch_ptr 0
		.amdhsa_user_sgpr_queue_ptr 0
		.amdhsa_user_sgpr_kernarg_segment_ptr 1
		.amdhsa_user_sgpr_dispatch_id 0
		.amdhsa_user_sgpr_flat_scratch_init 0
		.amdhsa_user_sgpr_private_segment_size 0
		.amdhsa_uses_dynamic_stack 0
		.amdhsa_system_sgpr_private_segment_wavefront_offset 0
		.amdhsa_system_sgpr_workgroup_id_x 1
		.amdhsa_system_sgpr_workgroup_id_y 0
		.amdhsa_system_sgpr_workgroup_id_z 0
		.amdhsa_system_sgpr_workgroup_info 0
		.amdhsa_system_vgpr_workitem_id 0
		.amdhsa_next_free_vgpr 154
		.amdhsa_next_free_sgpr 23
		.amdhsa_reserve_vcc 1
		.amdhsa_reserve_flat_scratch 0
		.amdhsa_float_round_mode_32 0
		.amdhsa_float_round_mode_16_64 0
		.amdhsa_float_denorm_mode_32 3
		.amdhsa_float_denorm_mode_16_64 3
		.amdhsa_dx10_clamp 1
		.amdhsa_ieee_mode 1
		.amdhsa_fp16_overflow 0
		.amdhsa_exception_fp_ieee_invalid_op 0
		.amdhsa_exception_fp_denorm_src 0
		.amdhsa_exception_fp_ieee_div_zero 0
		.amdhsa_exception_fp_ieee_overflow 0
		.amdhsa_exception_fp_ieee_underflow 0
		.amdhsa_exception_fp_ieee_inexact 0
		.amdhsa_exception_int_div_zero 0
	.end_amdhsa_kernel
	.text
.Lfunc_end0:
	.size	bluestein_single_fwd_len1078_dim1_half_op_CI_CI, .Lfunc_end0-bluestein_single_fwd_len1078_dim1_half_op_CI_CI
                                        ; -- End function
	.section	.AMDGPU.csdata,"",@progbits
; Kernel info:
; codeLenInByte = 26680
; NumSgprs: 27
; NumVgprs: 154
; ScratchSize: 0
; MemoryBound: 0
; FloatMode: 240
; IeeeMode: 1
; LDSByteSize: 12936 bytes/workgroup (compile time only)
; SGPRBlocks: 3
; VGPRBlocks: 38
; NumSGPRsForWavesPerEU: 27
; NumVGPRsForWavesPerEU: 154
; Occupancy: 1
; WaveLimiterHint : 1
; COMPUTE_PGM_RSRC2:SCRATCH_EN: 0
; COMPUTE_PGM_RSRC2:USER_SGPR: 6
; COMPUTE_PGM_RSRC2:TRAP_HANDLER: 0
; COMPUTE_PGM_RSRC2:TGID_X_EN: 1
; COMPUTE_PGM_RSRC2:TGID_Y_EN: 0
; COMPUTE_PGM_RSRC2:TGID_Z_EN: 0
; COMPUTE_PGM_RSRC2:TIDIG_COMP_CNT: 0
	.type	__hip_cuid_2476e410df321d21,@object ; @__hip_cuid_2476e410df321d21
	.section	.bss,"aw",@nobits
	.globl	__hip_cuid_2476e410df321d21
__hip_cuid_2476e410df321d21:
	.byte	0                               ; 0x0
	.size	__hip_cuid_2476e410df321d21, 1

	.ident	"AMD clang version 19.0.0git (https://github.com/RadeonOpenCompute/llvm-project roc-6.4.0 25133 c7fe45cf4b819c5991fe208aaa96edf142730f1d)"
	.section	".note.GNU-stack","",@progbits
	.addrsig
	.addrsig_sym __hip_cuid_2476e410df321d21
	.amdgpu_metadata
---
amdhsa.kernels:
  - .args:
      - .actual_access:  read_only
        .address_space:  global
        .offset:         0
        .size:           8
        .value_kind:     global_buffer
      - .actual_access:  read_only
        .address_space:  global
        .offset:         8
        .size:           8
        .value_kind:     global_buffer
      - .actual_access:  read_only
        .address_space:  global
        .offset:         16
        .size:           8
        .value_kind:     global_buffer
      - .actual_access:  read_only
        .address_space:  global
        .offset:         24
        .size:           8
        .value_kind:     global_buffer
      - .actual_access:  read_only
        .address_space:  global
        .offset:         32
        .size:           8
        .value_kind:     global_buffer
      - .offset:         40
        .size:           8
        .value_kind:     by_value
      - .address_space:  global
        .offset:         48
        .size:           8
        .value_kind:     global_buffer
      - .address_space:  global
        .offset:         56
        .size:           8
        .value_kind:     global_buffer
      - .address_space:  global
        .offset:         64
        .size:           8
        .value_kind:     global_buffer
      - .address_space:  global
        .offset:         72
        .size:           8
        .value_kind:     global_buffer
      - .offset:         80
        .size:           4
        .value_kind:     by_value
      - .address_space:  global
        .offset:         88
        .size:           8
        .value_kind:     global_buffer
      - .address_space:  global
        .offset:         96
        .size:           8
        .value_kind:     global_buffer
    .group_segment_fixed_size: 12936
    .kernarg_segment_align: 8
    .kernarg_segment_size: 104
    .language:       OpenCL C
    .language_version:
      - 2
      - 0
    .max_flat_workgroup_size: 231
    .name:           bluestein_single_fwd_len1078_dim1_half_op_CI_CI
    .private_segment_fixed_size: 0
    .sgpr_count:     27
    .sgpr_spill_count: 0
    .symbol:         bluestein_single_fwd_len1078_dim1_half_op_CI_CI.kd
    .uniform_work_group_size: 1
    .uses_dynamic_stack: false
    .vgpr_count:     154
    .vgpr_spill_count: 0
    .wavefront_size: 64
amdhsa.target:   amdgcn-amd-amdhsa--gfx906
amdhsa.version:
  - 1
  - 2
...

	.end_amdgpu_metadata
